;; amdgpu-corpus repo=ROCm/rocFFT kind=compiled arch=gfx950 opt=O3
	.text
	.amdgcn_target "amdgcn-amd-amdhsa--gfx950"
	.amdhsa_code_object_version 6
	.protected	bluestein_single_fwd_len650_dim1_sp_op_CI_CI ; -- Begin function bluestein_single_fwd_len650_dim1_sp_op_CI_CI
	.globl	bluestein_single_fwd_len650_dim1_sp_op_CI_CI
	.p2align	8
	.type	bluestein_single_fwd_len650_dim1_sp_op_CI_CI,@function
bluestein_single_fwd_len650_dim1_sp_op_CI_CI: ; @bluestein_single_fwd_len650_dim1_sp_op_CI_CI
; %bb.0:
	s_load_dwordx4 s[16:19], s[0:1], 0x28
	v_mul_u32_u24_e32 v1, 0x3f1, v0
	v_lshrrev_b32_e32 v2, 16, v1
	v_mad_u64_u32 v[70:71], s[2:3], s2, 3, v[2:3]
	v_mov_b32_e32 v71, 0
	s_waitcnt lgkmcnt(0)
	v_cmp_gt_u64_e32 vcc, s[16:17], v[70:71]
	s_and_saveexec_b64 s[2:3], vcc
	s_cbranch_execz .LBB0_10
; %bb.1:
	s_load_dwordx4 s[4:7], s[0:1], 0x18
	s_load_dwordx4 s[8:11], s[0:1], 0x0
	v_mul_lo_u16_e32 v1, 0x41, v2
	v_sub_u16_e32 v208, v0, v1
	v_mov_b32_e32 v4, s18
	s_waitcnt lgkmcnt(0)
	s_load_dwordx4 s[12:15], s[4:5], 0x0
	v_mov_b32_e32 v5, s19
	v_mov_b32_e32 v22, 0x208
	v_lshlrev_b32_e32 v86, 3, v208
	v_mov_b32_e32 v87, v71
	s_waitcnt lgkmcnt(0)
	v_mad_u64_u32 v[0:1], s[2:3], s14, v70, 0
	v_mov_b32_e32 v2, v1
	v_mad_u64_u32 v[2:3], s[2:3], s15, v70, v[2:3]
	v_mov_b32_e32 v1, v2
	v_mad_u64_u32 v[2:3], s[2:3], s12, v208, 0
	v_mov_b32_e32 v6, v3
	v_mad_u64_u32 v[6:7], s[2:3], s13, v208, v[6:7]
	v_mov_b32_e32 v3, v6
	v_lshl_add_u64 v[0:1], v[0:1], 3, v[4:5]
	v_lshl_add_u64 v[0:1], v[2:3], 3, v[0:1]
	global_load_dwordx2 v[2:3], v[0:1], off
	v_mad_u64_u32 v[0:1], s[2:3], s12, v22, v[0:1]
	s_mul_i32 s4, s13, 0x208
	v_add_u32_e32 v1, s4, v1
	v_mad_u64_u32 v[6:7], s[2:3], s12, v22, v[0:1]
	v_add_u32_e32 v7, s4, v7
	v_mad_u64_u32 v[8:9], s[2:3], s12, v22, v[6:7]
	v_add_u32_e32 v9, s4, v9
	global_load_dwordx2 v[84:85], v86, s[8:9]
	global_load_dwordx2 v[82:83], v86, s[8:9] offset:520
	global_load_dwordx2 v[76:77], v86, s[8:9] offset:1040
	;; [unrolled: 1-line block ×3, first 2 shown]
	global_load_dwordx2 v[10:11], v[0:1], off
	v_mad_u64_u32 v[0:1], s[2:3], s12, v22, v[8:9]
	v_add_u32_e32 v1, s4, v1
	global_load_dwordx2 v[12:13], v[6:7], off
	global_load_dwordx2 v[14:15], v[8:9], off
	;; [unrolled: 1-line block ×3, first 2 shown]
	v_mad_u64_u32 v[0:1], s[2:3], s12, v22, v[0:1]
	v_add_u32_e32 v1, s4, v1
	global_load_dwordx2 v[6:7], v[0:1], off
	v_mad_u64_u32 v[0:1], s[2:3], s12, v22, v[0:1]
	v_add_u32_e32 v1, s4, v1
	global_load_dwordx2 v[80:81], v86, s[8:9] offset:2080
	global_load_dwordx2 v[8:9], v[0:1], off
	v_mad_u64_u32 v[0:1], s[2:3], s12, v22, v[0:1]
	v_add_u32_e32 v1, s4, v1
	global_load_dwordx2 v[78:79], v86, s[8:9] offset:2600
	global_load_dwordx2 v[18:19], v[0:1], off
	global_load_dwordx2 v[72:73], v86, s[8:9] offset:3120
	global_load_dwordx2 v[68:69], v86, s[8:9] offset:3640
	v_mad_u64_u32 v[0:1], s[2:3], s12, v22, v[0:1]
	v_lshl_add_u64 v[4:5], s[8:9], 0, v[86:87]
	s_movk_i32 s2, 0x1000
	v_add_u32_e32 v1, s4, v1
	v_add_co_u32_e32 v4, vcc, s2, v4
	global_load_dwordx2 v[20:21], v[0:1], off
	s_nop 0
	v_addc_co_u32_e32 v5, vcc, 0, v5, vcc
	v_mad_u64_u32 v[0:1], s[2:3], s12, v22, v[0:1]
	global_load_dwordx2 v[66:67], v[4:5], off offset:64
	v_add_u32_e32 v1, s4, v1
	global_load_dwordx2 v[64:65], v[4:5], off offset:584
	global_load_dwordx2 v[22:23], v[0:1], off
	s_mov_b32 s2, 0xaaaaaaab
	v_mul_hi_u32 v0, v70, s2
	v_lshrrev_b32_e32 v0, 1, v0
	v_lshl_add_u32 v0, v0, 1, v0
	v_sub_u32_e32 v0, v70, v0
	v_mul_u32_u24_e32 v0, 0x28a, v0
	v_lshlrev_b32_e32 v209, 3, v0
	v_add_u32_e32 v71, v86, v209
	s_load_dwordx4 s[4:7], s[6:7], 0x0
	s_mov_b32 s2, 0x3f737871
	s_mov_b32 s12, 0x3f167918
	;; [unrolled: 1-line block ×6, first 2 shown]
                                        ; implicit-def: $vgpr106
                                        ; implicit-def: $vgpr108
                                        ; implicit-def: $vgpr104
                                        ; implicit-def: $vgpr110
	s_waitcnt vmcnt(18)
	v_mul_f32_e32 v0, v3, v85
	v_mul_f32_e32 v1, v2, v85
	v_fmac_f32_e32 v0, v2, v84
	v_fma_f32 v1, v3, v84, -v1
	s_waitcnt vmcnt(14)
	v_mul_f32_e32 v2, v11, v83
	v_mul_f32_e32 v3, v10, v83
	v_fmac_f32_e32 v2, v10, v82
	v_fma_f32 v3, v11, v82, -v3
	ds_write2_b64 v71, v[0:1], v[2:3] offset1:65
	s_waitcnt vmcnt(13)
	v_mul_f32_e32 v0, v13, v77
	v_mul_f32_e32 v1, v12, v77
	s_waitcnt vmcnt(12)
	v_mul_f32_e32 v2, v15, v75
	v_mul_f32_e32 v3, v14, v75
	v_fmac_f32_e32 v0, v12, v76
	v_fma_f32 v1, v13, v76, -v1
	v_fmac_f32_e32 v2, v14, v74
	v_fma_f32 v3, v15, v74, -v3
	ds_write2_b64 v71, v[0:1], v[2:3] offset0:130 offset1:195
	s_waitcnt vmcnt(9)
	v_mul_f32_e32 v0, v17, v81
	v_mul_f32_e32 v1, v16, v81
	s_waitcnt vmcnt(7)
	v_mul_f32_e32 v2, v7, v79
	v_mul_f32_e32 v3, v6, v79
	v_fmac_f32_e32 v0, v16, v80
	v_fma_f32 v1, v17, v80, -v1
	v_fmac_f32_e32 v2, v6, v78
	v_fma_f32 v3, v7, v78, -v3
	v_add_u32_e32 v16, 0x800, v71
	ds_write2_b64 v16, v[0:1], v[2:3] offset0:4 offset1:69
	s_waitcnt vmcnt(5)
	v_mul_f32_e32 v0, v9, v73
	v_mul_f32_e32 v1, v8, v73
	s_waitcnt vmcnt(4)
	v_mul_f32_e32 v2, v19, v69
	v_mul_f32_e32 v3, v18, v69
	v_fmac_f32_e32 v0, v8, v72
	v_fma_f32 v1, v9, v72, -v1
	v_fmac_f32_e32 v2, v18, v68
	v_fma_f32 v3, v19, v68, -v3
	ds_write2_b64 v16, v[0:1], v[2:3] offset0:134 offset1:199
	s_waitcnt vmcnt(2)
	v_mul_f32_e32 v0, v21, v67
	v_mul_f32_e32 v1, v20, v67
	s_waitcnt vmcnt(0)
	v_mul_f32_e32 v2, v23, v65
	v_mul_f32_e32 v3, v22, v65
	v_fmac_f32_e32 v0, v20, v66
	v_fma_f32 v1, v21, v66, -v1
	v_fmac_f32_e32 v2, v22, v64
	v_fma_f32 v3, v23, v64, -v3
	v_add_u32_e32 v17, 0x1000, v71
	ds_write2_b64 v17, v[0:1], v[2:3] offset0:8 offset1:73
	s_waitcnt lgkmcnt(0)
	s_barrier
	ds_read2_b64 v[0:3], v71 offset1:65
	ds_read2_b64 v[4:7], v71 offset0:130 offset1:195
	ds_read2_b64 v[8:11], v17 offset0:8 offset1:73
	;; [unrolled: 1-line block ×4, first 2 shown]
	s_waitcnt lgkmcnt(0)
	v_pk_add_f32 v[22:23], v[0:1], v[4:5]
	v_pk_add_f32 v[24:25], v[2:3], v[6:7]
	;; [unrolled: 1-line block ×4, first 2 shown]
	v_pk_add_f32 v[26:27], v[4:5], v[8:9] neg_lo:[0,1] neg_hi:[0,1]
	v_pk_add_f32 v[28:29], v[4:5], v[12:13] neg_lo:[0,1] neg_hi:[0,1]
	v_pk_add_f32 v[32:33], v[6:7], v[10:11] neg_lo:[0,1] neg_hi:[0,1]
	v_pk_add_f32 v[34:35], v[6:7], v[10:11]
	v_pk_add_f32 v[36:37], v[14:15], v[6:7] neg_lo:[0,1] neg_hi:[0,1]
	v_pk_add_f32 v[6:7], v[6:7], v[14:15] neg_lo:[0,1] neg_hi:[0,1]
	v_pk_add_f32 v[38:39], v[12:13], v[18:19]
	v_pk_add_f32 v[40:41], v[14:15], v[20:21] neg_lo:[0,1] neg_hi:[0,1]
	v_pk_add_f32 v[14:15], v[14:15], v[20:21]
	v_pk_add_f32 v[22:23], v[22:23], v[18:19]
	v_pk_add_f32 v[24:25], v[24:25], v[20:21]
	v_pk_add_f32 v[42:43], v[8:9], v[18:19] neg_lo:[0,1] neg_hi:[0,1]
	v_pk_add_f32 v[30:31], v[4:5], v[8:9]
	v_pk_add_f32 v[4:5], v[12:13], v[4:5] neg_lo:[0,1] neg_hi:[0,1]
	v_pk_add_f32 v[12:13], v[12:13], v[18:19] neg_lo:[0,1] neg_hi:[0,1]
	;; [unrolled: 1-line block ×5, first 2 shown]
	v_pk_add_f32 v[8:9], v[22:23], v[8:9]
	v_pk_add_f32 v[10:11], v[24:25], v[10:11]
	v_pk_fma_f32 v[22:23], v[38:39], 0.5, v[0:1] op_sel_hi:[1,0,1] neg_lo:[1,0,0] neg_hi:[1,0,0]
	v_pk_fma_f32 v[24:25], v[34:35], 0.5, v[2:3] op_sel_hi:[1,0,1] neg_lo:[1,0,0] neg_hi:[1,0,0]
	;; [unrolled: 1-line block ×3, first 2 shown]
	v_pk_add_f32 v[14:15], v[28:29], v[42:43]
	v_pk_mul_f32 v[28:29], v[26:27], s[2:3] op_sel_hi:[1,0]
	v_pk_fma_f32 v[0:1], v[30:31], 0.5, v[0:1] op_sel_hi:[1,0,1] neg_lo:[1,0,0] neg_hi:[1,0,0]
	v_pk_add_f32 v[30:31], v[22:23], v[28:29] op_sel:[0,1] op_sel_hi:[1,0]
	v_pk_add_f32 v[22:23], v[22:23], v[28:29] op_sel:[0,1] op_sel_hi:[1,0] neg_lo:[0,1] neg_hi:[0,1]
	v_pk_mul_f32 v[28:29], v[12:13], s[12:13] op_sel_hi:[1,0]
	v_pk_add_f32 v[4:5], v[4:5], v[18:19]
	v_pk_add_f32 v[22:23], v[22:23], v[28:29] op_sel:[0,1] op_sel_hi:[1,0] neg_lo:[0,1] neg_hi:[0,1]
	v_pk_add_f32 v[28:29], v[30:31], v[28:29] op_sel:[0,1] op_sel_hi:[1,0]
	v_pk_mul_f32 v[30:31], v[40:41], s[2:3] op_sel_hi:[1,0]
	v_pk_add_f32 v[18:19], v[36:37], v[44:45]
	v_pk_add_f32 v[34:35], v[24:25], v[30:31] op_sel:[0,1] op_sel_hi:[1,0] neg_lo:[0,1] neg_hi:[0,1]
	v_pk_add_f32 v[24:25], v[24:25], v[30:31] op_sel:[0,1] op_sel_hi:[1,0]
	v_pk_mul_f32 v[30:31], v[32:33], s[12:13] op_sel_hi:[1,0]
	v_pk_mul_f32 v[12:13], v[12:13], s[2:3] op_sel_hi:[1,0]
	v_pk_add_f32 v[24:25], v[24:25], v[30:31] op_sel:[0,1] op_sel_hi:[1,0] neg_lo:[0,1] neg_hi:[0,1]
	v_pk_add_f32 v[30:31], v[34:35], v[30:31] op_sel:[0,1] op_sel_hi:[1,0]
	v_mov_b32_e32 v35, v25
	v_mov_b32_e32 v34, v30
	v_pk_fma_f32 v[34:35], v[18:19], s[14:15], v[34:35] op_sel_hi:[1,0,1]
	v_mov_b32_e32 v25, v31
	v_pk_mul_f32 v[36:37], v[34:35], s[2:3] op_sel_hi:[1,0]
	v_pk_fma_f32 v[18:19], v[18:19], s[14:15], v[24:25] op_sel_hi:[1,0,1]
	v_pk_fma_f32 v[38:39], v[34:35], s[14:15], v[36:37] op_sel:[0,0,1] op_sel_hi:[1,0,0]
	v_pk_fma_f32 v[34:35], v[34:35], s[14:15], v[36:37] op_sel:[0,0,1] op_sel_hi:[1,0,0] neg_lo:[0,0,1] neg_hi:[0,0,1]
	v_pk_mul_f32 v[24:25], v[18:19], s[14:15] op_sel_hi:[1,0]
	v_mov_b32_e32 v39, v35
	v_pk_add_f32 v[34:35], v[0:1], v[12:13] op_sel:[0,1] op_sel_hi:[1,0] neg_lo:[0,1] neg_hi:[0,1]
	v_pk_add_f32 v[0:1], v[0:1], v[12:13] op_sel:[0,1] op_sel_hi:[1,0]
	v_pk_mul_f32 v[12:13], v[26:27], s[12:13] op_sel_hi:[1,0]
	v_pk_fma_f32 v[18:19], v[18:19], s[16:17], v[24:25] op_sel:[0,0,1] op_sel_hi:[1,1,0] neg_lo:[0,0,1] neg_hi:[0,0,1]
	v_pk_add_f32 v[0:1], v[0:1], v[12:13] op_sel:[0,1] op_sel_hi:[1,0] neg_lo:[0,1] neg_hi:[0,1]
	v_pk_add_f32 v[12:13], v[34:35], v[12:13] op_sel:[0,1] op_sel_hi:[1,0]
	v_mov_b32_e32 v25, v1
	v_mov_b32_e32 v24, v12
	;; [unrolled: 1-line block ×3, first 2 shown]
	v_mul_lo_u16_e32 v12, 10, v208
	v_lshl_add_u32 v210, v12, 3, v209
	v_pk_fma_f32 v[12:13], v[4:5], s[14:15], v[24:25] op_sel_hi:[1,0,1]
	v_pk_fma_f32 v[24:25], v[4:5], s[14:15], v[0:1] op_sel_hi:[1,0,1]
	v_mov_b32_e32 v4, v28
	v_mov_b32_e32 v5, v23
	v_pk_add_f32 v[6:7], v[6:7], v[20:21]
	v_mov_b32_e32 v23, v29
	v_pk_fma_f32 v[20:21], v[14:15], s[14:15], v[4:5] op_sel_hi:[1,0,1]
	v_pk_mul_f32 v[4:5], v[32:33], s[2:3] op_sel_hi:[1,0]
	v_pk_fma_f32 v[14:15], v[14:15], s[14:15], v[22:23] op_sel_hi:[1,0,1]
	v_pk_add_f32 v[22:23], v[2:3], v[4:5] op_sel:[0,1] op_sel_hi:[1,0]
	v_pk_mul_f32 v[26:27], v[40:41], s[12:13] op_sel_hi:[1,0]
	v_pk_add_f32 v[2:3], v[2:3], v[4:5] op_sel:[0,1] op_sel_hi:[1,0] neg_lo:[0,1] neg_hi:[0,1]
	v_pk_add_f32 v[22:23], v[26:27], v[22:23] op_sel:[1,0] op_sel_hi:[0,1]
	v_pk_add_f32 v[2:3], v[2:3], v[26:27] op_sel:[0,1] op_sel_hi:[1,0] neg_lo:[0,1] neg_hi:[0,1]
	v_pk_fma_f32 v[4:5], v[6:7], s[14:15], v[22:23] op_sel_hi:[1,0,1]
	v_pk_fma_f32 v[26:27], v[6:7], s[14:15], v[2:3] op_sel_hi:[1,0,1]
	v_mov_b32_e32 v3, v23
	v_pk_fma_f32 v[2:3], v[6:7], s[14:15], v[2:3] op_sel_hi:[1,0,1]
	s_mov_b32 s16, 0xbf167918
	s_mov_b32 s17, s12
	v_pk_mul_f32 v[6:7], v[2:3], s[18:19] op_sel_hi:[1,0]
	s_mov_b32 s19, s12
	v_pk_fma_f32 v[22:23], v[2:3], s[16:17], v[6:7] op_sel:[0,0,1] op_sel_hi:[1,1,0] neg_lo:[0,0,1] neg_hi:[0,0,1]
	v_pk_mul_f32 v[2:3], v[4:5], s[18:19] op_sel_hi:[0,1]
	s_mov_b32 s13, s18
	v_pk_fma_f32 v[28:29], v[26:27], s[12:13], v[2:3] op_sel:[1,0,0]
	v_pk_fma_f32 v[2:3], v[26:27], s[12:13], v[2:3] op_sel:[1,0,0] neg_lo:[0,0,1] neg_hi:[0,0,1]
	v_pk_add_f32 v[0:1], v[8:9], v[10:11]
	v_mov_b32_e32 v29, v3
	v_pk_add_f32 v[2:3], v[20:21], v[28:29]
	v_pk_add_f32 v[26:27], v[14:15], v[22:23] op_sel:[1,0] op_sel_hi:[0,1]
	s_barrier
	v_pk_add_f32 v[4:5], v[12:13], v[38:39]
	v_pk_add_f32 v[6:7], v[24:25], v[18:19] op_sel:[0,1] op_sel_hi:[1,0]
	ds_write_b128 v210, v[0:3]
	ds_write_b128 v210, v[4:7] offset:16
	v_pk_add_f32 v[2:3], v[8:9], v[10:11] neg_lo:[0,1] neg_hi:[0,1]
	v_mov_b32_e32 v0, v27
	v_mov_b32_e32 v1, v26
	ds_write_b128 v210, v[0:3] offset:32
	v_pk_add_f32 v[0:1], v[20:21], v[28:29] neg_lo:[0,1] neg_hi:[0,1]
	v_pk_add_f32 v[2:3], v[12:13], v[38:39] neg_lo:[0,1] neg_hi:[0,1]
	v_pk_add_f32 v[4:5], v[14:15], v[22:23] op_sel:[1,0] op_sel_hi:[0,1] neg_lo:[0,1] neg_hi:[0,1]
	ds_write_b128 v210, v[0:3] offset:48
	v_pk_add_f32 v[0:1], v[24:25], v[18:19] op_sel:[0,1] op_sel_hi:[1,0] neg_lo:[0,1] neg_hi:[0,1]
	v_mov_b32_e32 v2, v5
	v_mov_b32_e32 v3, v4
	s_movk_i32 s3, 0xcd
	ds_write_b128 v210, v[0:3] offset:64
	v_mul_lo_u16_sdwa v0, v208, s3 dst_sel:DWORD dst_unused:UNUSED_PAD src0_sel:BYTE_0 src1_sel:DWORD
	v_lshrrev_b16_e32 v60, 11, v0
	v_mul_lo_u16_e32 v0, 10, v60
	v_sub_u16_e32 v61, v208, v0
	v_mov_b32_e32 v8, 5
	v_lshlrev_b32_sdwa v9, v8, v61 dst_sel:DWORD dst_unused:UNUSED_PAD src0_sel:DWORD src1_sel:BYTE_0
	s_waitcnt lgkmcnt(0)
	s_barrier
	global_load_dwordx4 v[4:7], v9, s[10:11] offset:16
	global_load_dwordx4 v[0:3], v9, s[10:11]
	v_add_u16_e32 v9, 0x41, v208
	v_mul_lo_u16_sdwa v10, v9, s3 dst_sel:DWORD dst_unused:UNUSED_PAD src0_sel:BYTE_0 src1_sel:DWORD
	v_lshrrev_b16_e32 v62, 11, v10
	v_mul_lo_u16_e32 v10, 10, v62
	v_sub_u16_e32 v63, v9, v10
	v_lshlrev_b32_sdwa v18, v8, v63 dst_sel:DWORD dst_unused:UNUSED_PAD src0_sel:DWORD src1_sel:BYTE_0
	global_load_dwordx4 v[8:11], v18, s[10:11]
	global_load_dwordx4 v[12:15], v18, s[10:11] offset:16
	ds_read2_b64 v[18:21], v16 offset0:134 offset1:199
	ds_read2_b64 v[22:25], v17 offset0:8 offset1:73
	;; [unrolled: 1-line block ×3, first 2 shown]
	ds_read2_b64 v[34:37], v71 offset1:65
	s_waitcnt vmcnt(3) lgkmcnt(3)
	v_pk_mul_f32 v[26:27], v[18:19], v[4:5] op_sel:[0,1]
	s_nop 0
	v_pk_fma_f32 v[38:39], v[18:19], v[4:5], v[26:27] op_sel:[0,0,1] op_sel_hi:[1,1,0] neg_lo:[0,0,1] neg_hi:[0,0,1]
	v_pk_fma_f32 v[18:19], v[18:19], v[4:5], v[26:27] op_sel:[0,0,1] op_sel_hi:[1,0,0]
	ds_read2_b64 v[26:29], v71 offset0:130 offset1:195
	v_mov_b32_e32 v92, v7
	v_mov_b32_e32 v39, v19
	s_waitcnt lgkmcnt(3)
	v_pk_mul_f32 v[18:19], v[22:23], v[92:93] op_sel_hi:[1,0]
	s_waitcnt vmcnt(2)
	v_mov_b32_e32 v94, v3
	v_pk_fma_f32 v[44:45], v[22:23], v[6:7], v[18:19] op_sel:[0,0,1] op_sel_hi:[1,1,0] neg_lo:[0,0,1] neg_hi:[0,0,1]
	v_pk_fma_f32 v[18:19], v[22:23], v[6:7], v[18:19] op_sel:[0,0,1] op_sel_hi:[1,0,0]
	s_waitcnt vmcnt(1)
	v_mov_b32_e32 v88, v11
	v_mov_b32_e32 v45, v19
	s_waitcnt lgkmcnt(0)
	v_pk_mul_f32 v[18:19], v[26:27], v[0:1] op_sel:[0,1]
	s_waitcnt vmcnt(0)
	v_mov_b32_e32 v90, v15
	v_pk_fma_f32 v[22:23], v[26:27], v[0:1], v[18:19] op_sel:[0,0,1] op_sel_hi:[1,1,0] neg_lo:[0,0,1] neg_hi:[0,0,1]
	v_pk_fma_f32 v[18:19], v[26:27], v[0:1], v[18:19] op_sel:[0,0,1] op_sel_hi:[1,0,0]
	v_pk_add_f32 v[50:51], v[44:45], v[38:39] neg_lo:[0,1] neg_hi:[0,1]
	v_mov_b32_e32 v23, v19
	v_pk_mul_f32 v[18:19], v[30:31], v[94:95] op_sel_hi:[1,0]
	v_pk_add_f32 v[48:49], v[22:23], v[44:45] neg_lo:[0,1] neg_hi:[0,1]
	v_pk_fma_f32 v[26:27], v[30:31], v[2:3], v[18:19] op_sel:[0,0,1] op_sel_hi:[1,1,0] neg_lo:[0,0,1] neg_hi:[0,0,1]
	v_pk_fma_f32 v[18:19], v[30:31], v[2:3], v[18:19] op_sel:[0,0,1] op_sel_hi:[1,0,0]
	v_pk_add_f32 v[30:31], v[38:39], v[44:45] neg_lo:[0,1] neg_hi:[0,1]
	v_mov_b32_e32 v27, v19
	v_pk_add_f32 v[18:19], v[26:27], v[22:23] neg_lo:[0,1] neg_hi:[0,1]
	v_pk_add_f32 v[46:47], v[26:27], v[38:39] neg_lo:[0,1] neg_hi:[0,1]
	v_pk_add_f32 v[18:19], v[18:19], v[30:31]
	v_pk_add_f32 v[30:31], v[22:23], v[44:45]
	v_pk_mul_f32 v[40:41], v[46:47], s[2:3] op_sel_hi:[1,0]
	v_pk_fma_f32 v[30:31], v[30:31], 0.5, v[34:35] op_sel_hi:[1,0,1] neg_lo:[1,0,0] neg_hi:[1,0,0]
	v_mul_u32_u24_e32 v3, 50, v60
	v_pk_add_f32 v[42:43], v[30:31], v[40:41] op_sel:[0,1] op_sel_hi:[1,0] neg_lo:[0,1] neg_hi:[0,1]
	v_pk_add_f32 v[30:31], v[30:31], v[40:41] op_sel:[0,1] op_sel_hi:[1,0]
	v_pk_mul_f32 v[40:41], v[48:49], s[12:13] op_sel_hi:[1,0]
	v_mul_u32_u24_e32 v7, 50, v62
	v_pk_add_f32 v[30:31], v[30:31], v[40:41] op_sel:[0,1] op_sel_hi:[1,0] neg_lo:[0,1] neg_hi:[0,1]
	v_pk_add_f32 v[40:41], v[42:43], v[40:41] op_sel:[0,1] op_sel_hi:[1,0]
	v_mov_b32_e32 v43, v31
	v_mov_b32_e32 v42, v40
	;; [unrolled: 1-line block ×3, first 2 shown]
	v_pk_fma_f32 v[40:41], v[18:19], s[14:15], v[42:43] op_sel_hi:[1,0,1]
	v_pk_fma_f32 v[42:43], v[18:19], s[14:15], v[30:31] op_sel_hi:[1,0,1]
	v_pk_mul_f32 v[18:19], v[28:29], v[8:9] op_sel:[0,1]
	v_add_u32_sdwa v3, v3, v61 dst_sel:DWORD dst_unused:UNUSED_PAD src0_sel:DWORD src1_sel:BYTE_0
	v_pk_fma_f32 v[30:31], v[28:29], v[8:9], v[18:19] op_sel:[0,0,1] op_sel_hi:[1,1,0] neg_lo:[0,0,1] neg_hi:[0,0,1]
	v_pk_fma_f32 v[18:19], v[28:29], v[8:9], v[18:19] op_sel:[0,0,1] op_sel_hi:[1,0,0]
	v_pk_mul_f32 v[28:29], v[32:33], v[88:89] op_sel_hi:[1,0]
	v_mov_b32_e32 v31, v19
	v_pk_fma_f32 v[52:53], v[32:33], v[10:11], v[28:29] op_sel:[0,0,1] op_sel_hi:[1,1,0] neg_lo:[0,0,1] neg_hi:[0,0,1]
	v_pk_fma_f32 v[28:29], v[32:33], v[10:11], v[28:29] op_sel:[0,0,1] op_sel_hi:[1,0,0]
	v_pk_mul_f32 v[32:33], v[20:21], v[12:13] op_sel:[0,1]
	v_mov_b32_e32 v53, v29
	v_pk_fma_f32 v[54:55], v[20:21], v[12:13], v[32:33] op_sel:[0,0,1] op_sel_hi:[1,1,0] neg_lo:[0,0,1] neg_hi:[0,0,1]
	v_pk_fma_f32 v[20:21], v[20:21], v[12:13], v[32:33] op_sel:[0,0,1] op_sel_hi:[1,0,0]
	v_pk_mul_f32 v[32:33], v[24:25], v[90:91] op_sel_hi:[1,0]
	v_mov_b32_e32 v55, v21
	v_pk_fma_f32 v[56:57], v[24:25], v[14:15], v[32:33] op_sel:[0,0,1] op_sel_hi:[1,1,0] neg_lo:[0,0,1] neg_hi:[0,0,1]
	v_pk_fma_f32 v[24:25], v[24:25], v[14:15], v[32:33] op_sel:[0,0,1] op_sel_hi:[1,0,0]
	v_pk_add_f32 v[32:33], v[22:23], v[26:27] neg_lo:[0,1] neg_hi:[0,1]
	v_pk_add_f32 v[22:23], v[34:35], v[22:23]
	v_mov_b32_e32 v57, v25
	v_pk_add_f32 v[22:23], v[22:23], v[26:27]
	v_pk_add_f32 v[26:27], v[26:27], v[38:39]
	;; [unrolled: 1-line block ×3, first 2 shown]
	v_pk_fma_f32 v[26:27], v[26:27], 0.5, v[34:35] op_sel_hi:[1,0,1] neg_lo:[1,0,0] neg_hi:[1,0,0]
	v_pk_mul_f32 v[34:35], v[48:49], s[2:3] op_sel_hi:[1,0]
	v_pk_add_f32 v[24:25], v[36:37], v[30:31]
	v_pk_add_f32 v[38:39], v[26:27], v[34:35] op_sel:[0,1] op_sel_hi:[1,0]
	v_pk_add_f32 v[26:27], v[26:27], v[34:35] op_sel:[0,1] op_sel_hi:[1,0] neg_lo:[0,1] neg_hi:[0,1]
	v_pk_mul_f32 v[34:35], v[46:47], s[12:13] op_sel_hi:[1,0]
	v_pk_add_f32 v[32:33], v[32:33], v[50:51]
	v_pk_add_f32 v[26:27], v[26:27], v[34:35] op_sel:[0,1] op_sel_hi:[1,0] neg_lo:[0,1] neg_hi:[0,1]
	v_pk_add_f32 v[34:35], v[38:39], v[34:35] op_sel:[0,1] op_sel_hi:[1,0]
	v_pk_add_f32 v[44:45], v[22:23], v[44:45]
	v_mov_b32_e32 v22, v34
	v_mov_b32_e32 v23, v27
	v_pk_add_f32 v[24:25], v[24:25], v[52:53]
	v_pk_fma_f32 v[46:47], v[32:33], s[14:15], v[22:23] op_sel_hi:[1,0,1]
	v_mov_b32_e32 v27, v35
	v_pk_add_f32 v[18:19], v[52:53], v[30:31] neg_lo:[0,1] neg_hi:[0,1]
	v_pk_add_f32 v[20:21], v[54:55], v[56:57] neg_lo:[0,1] neg_hi:[0,1]
	v_pk_add_f32 v[22:23], v[52:53], v[54:55]
	v_pk_add_f32 v[24:25], v[24:25], v[54:55]
	;; [unrolled: 1-line block ×4, first 2 shown]
	v_pk_fma_f32 v[22:23], v[22:23], 0.5, v[36:37] op_sel_hi:[1,0,1] neg_lo:[1,0,0] neg_hi:[1,0,0]
	v_pk_fma_f32 v[48:49], v[32:33], s[14:15], v[26:27] op_sel_hi:[1,0,1]
	v_pk_add_f32 v[50:51], v[24:25], v[56:57]
	v_pk_add_f32 v[24:25], v[30:31], v[56:57] neg_lo:[0,1] neg_hi:[0,1]
	v_pk_add_f32 v[26:27], v[30:31], v[52:53] neg_lo:[0,1] neg_hi:[0,1]
	;; [unrolled: 1-line block ×4, first 2 shown]
	v_pk_add_f32 v[26:27], v[26:27], v[30:31]
	v_pk_fma_f32 v[30:31], v[24:25], s[2:3], v[22:23] op_sel:[1,0,0] op_sel_hi:[0,0,1]
	v_pk_fma_f32 v[22:23], v[24:25], s[2:3], v[22:23] op_sel:[1,0,0] op_sel_hi:[0,0,1] neg_lo:[1,0,0] neg_hi:[1,0,0]
	v_pk_fma_f32 v[20:21], v[20:21], 0.5, v[36:37] op_sel_hi:[1,0,1] neg_lo:[1,0,0] neg_hi:[1,0,0]
	v_pk_fma_f32 v[22:23], v[28:29], s[12:13], v[22:23] op_sel:[1,0,0] op_sel_hi:[0,0,1] neg_lo:[1,0,0] neg_hi:[1,0,0]
	v_pk_fma_f32 v[30:31], v[28:29], s[12:13], v[30:31] op_sel:[1,0,0] op_sel_hi:[0,0,1]
	v_mov_b32_e32 v32, v30
	v_mov_b32_e32 v33, v23
	;; [unrolled: 1-line block ×3, first 2 shown]
	v_pk_fma_f32 v[30:31], v[28:29], s[2:3], v[20:21] op_sel:[1,0,0] op_sel_hi:[0,0,1] neg_lo:[1,0,0] neg_hi:[1,0,0]
	v_pk_fma_f32 v[20:21], v[28:29], s[2:3], v[20:21] op_sel:[1,0,0] op_sel_hi:[0,0,1]
	v_pk_fma_f32 v[20:21], v[24:25], s[12:13], v[20:21] op_sel:[1,0,0] op_sel_hi:[0,0,1] neg_lo:[1,0,0] neg_hi:[1,0,0]
	v_pk_fma_f32 v[24:25], v[24:25], s[12:13], v[30:31] op_sel:[1,0,0] op_sel_hi:[0,0,1]
	s_load_dwordx2 s[12:13], s[0:1], 0x38
	v_mov_b32_e32 v28, v24
	v_mov_b32_e32 v29, v21
	;; [unrolled: 1-line block ×3, first 2 shown]
	v_add_u32_sdwa v7, v7, v63 dst_sel:DWORD dst_unused:UNUSED_PAD src0_sel:DWORD src1_sel:BYTE_0
	v_pk_fma_f32 v[52:53], v[26:27], s[14:15], v[32:33] op_sel_hi:[1,0,1]
	v_pk_fma_f32 v[54:55], v[18:19], s[14:15], v[28:29] op_sel_hi:[1,0,1]
	;; [unrolled: 1-line block ×4, first 2 shown]
	v_lshl_add_u32 v211, v3, 3, v209
	v_lshl_add_u32 v212, v7, 3, v209
	v_cmp_gt_u16_e64 s[0:1], 50, v208
	v_mov_b32_e32 v100, v1
	v_mov_b32_e32 v102, v5
	;; [unrolled: 1-line block ×4, first 2 shown]
	s_waitcnt lgkmcnt(0)
	s_barrier
	ds_write2_b64 v211, v[44:45], v[46:47] offset1:10
	ds_write2_b64 v211, v[40:41], v[42:43] offset0:20 offset1:30
	ds_write_b64 v211, v[48:49] offset:320
	ds_write2_b64 v212, v[50:51], v[52:53] offset1:10
	ds_write2_b64 v212, v[54:55], v[56:57] offset0:20 offset1:30
	ds_write_b64 v212, v[58:59] offset:320
	s_waitcnt lgkmcnt(0)
	s_barrier
	s_waitcnt lgkmcnt(0)
                                        ; implicit-def: $vgpr60
	s_and_saveexec_b64 s[2:3], s[0:1]
	s_cbranch_execz .LBB0_3
; %bb.2:
	ds_read2_b64 v[44:47], v71 offset1:50
	ds_read2_b64 v[40:43], v71 offset0:100 offset1:150
	ds_read2_b64 v[48:51], v71 offset0:200 offset1:250
	v_add_u32_e32 v1, 0xc00, v71
	ds_read2_b64 v[60:63], v1 offset0:116 offset1:166
	ds_read2_b64 v[52:55], v16 offset0:44 offset1:94
	ds_read_b64 v[104:105], v71 offset:4800
	ds_read2_b64 v[56:59], v16 offset0:144 offset1:194
	s_waitcnt lgkmcnt(3)
	v_mov_b32_e32 v106, v61
	v_mov_b32_e32 v108, v63
	s_waitcnt lgkmcnt(1)
	v_mov_b32_e32 v110, v105
.LBB0_3:
	s_or_b64 exec, exec, s[2:3]
	v_subrev_u32_e32 v1, 50, v208
	v_cndmask_b32_e64 v1, v1, v208, s[0:1]
	v_mul_hi_i32_i24_e32 v17, 0x60, v1
	v_mul_i32_i24_e32 v16, 0x60, v1
	v_lshl_add_u64 v[112:113], s[10:11], 0, v[16:17]
	global_load_dwordx4 v[20:23], v[112:113], off offset:320
	global_load_dwordx4 v[16:19], v[112:113], off offset:336
	;; [unrolled: 1-line block ×6, first 2 shown]
	s_mov_b32 s22, 0xbf7e222b
	s_mov_b32 s2, 0x3df6dbef
	;; [unrolled: 1-line block ×15, first 2 shown]
	v_mov_b32_e32 v5, v4
	v_mov_b32_e32 v103, v102
	;; [unrolled: 1-line block ×16, first 2 shown]
	s_waitcnt vmcnt(5)
	v_pk_mul_f32 v[138:139], v[46:47], v[20:21] op_sel:[1,0]
	v_pk_mul_f32 v[114:115], v[40:41], v[22:23] op_sel:[1,0]
	v_pk_fma_f32 v[142:143], v[46:47], v[20:21], v[138:139] op_sel:[0,0,1] op_sel_hi:[1,1,0] neg_lo:[0,0,1] neg_hi:[0,0,1]
	v_pk_fma_f32 v[46:47], v[46:47], v[20:21], v[138:139] op_sel:[0,0,1] op_sel_hi:[0,1,0]
	s_waitcnt vmcnt(4)
	v_pk_mul_f32 v[116:117], v[42:43], v[16:17] op_sel:[1,0]
	s_waitcnt vmcnt(0)
	v_pk_mul_f32 v[110:111], v[110:111], v[38:39] op_sel_hi:[0,1]
	v_pk_mul_f32 v[108:109], v[108:109], v[36:37] op_sel_hi:[0,1]
	v_pk_fma_f32 v[136:137], v[104:105], v[38:39], v[110:111] op_sel:[0,0,1] op_sel_hi:[1,1,0] neg_lo:[0,0,1] neg_hi:[0,0,1]
	v_pk_fma_f32 v[104:105], v[104:105], v[38:39], v[110:111] op_sel:[0,0,1] op_sel_hi:[0,1,0]
	v_pk_mul_f32 v[128:129], v[54:55], v[28:29] op_sel:[1,0]
	s_waitcnt lgkmcnt(0)
	v_pk_mul_f32 v[130:131], v[56:57], v[30:31] op_sel:[1,0]
	v_pk_mul_f32 v[132:133], v[58:59], v[32:33] op_sel:[1,0]
	v_pk_mul_f32 v[106:107], v[106:107], v[34:35] op_sel_hi:[0,1]
	v_pk_fma_f32 v[112:113], v[40:41], v[22:23], v[114:115] op_sel:[0,0,1] op_sel_hi:[1,1,0] neg_lo:[0,0,1] neg_hi:[0,0,1]
	v_pk_fma_f32 v[40:41], v[40:41], v[22:23], v[114:115] op_sel:[0,0,1] op_sel_hi:[0,1,0]
	v_pk_fma_f32 v[134:135], v[62:63], v[36:37], v[108:109] op_sel:[0,0,1] op_sel_hi:[1,1,0] neg_lo:[0,0,1] neg_hi:[0,0,1]
	v_pk_fma_f32 v[62:63], v[62:63], v[36:37], v[108:109] op_sel:[0,0,1] op_sel_hi:[0,1,0]
	v_mov_b32_e32 v143, v47
	v_mov_b32_e32 v137, v105
	v_pk_mul_f32 v[118:119], v[48:49], v[18:19] op_sel:[1,0]
	v_pk_mul_f32 v[122:123], v[52:53], v[26:27] op_sel:[1,0]
	v_pk_fma_f32 v[114:115], v[42:43], v[16:17], v[116:117] op_sel:[0,0,1] op_sel_hi:[1,1,0] neg_lo:[0,0,1] neg_hi:[0,0,1]
	v_pk_fma_f32 v[42:43], v[42:43], v[16:17], v[116:117] op_sel:[0,0,1] op_sel_hi:[0,1,0]
	v_pk_fma_f32 v[126:127], v[54:55], v[28:29], v[128:129] op_sel:[0,0,1] op_sel_hi:[1,1,0] neg_lo:[0,0,1] neg_hi:[0,0,1]
	v_pk_fma_f32 v[54:55], v[54:55], v[28:29], v[128:129] op_sel:[0,0,1] op_sel_hi:[0,1,0]
	;; [unrolled: 2-line block ×5, first 2 shown]
	v_mov_b32_e32 v113, v41
	v_mov_b32_e32 v135, v63
	v_pk_add_f32 v[144:145], v[142:143], v[136:137] neg_lo:[0,1] neg_hi:[0,1]
	v_pk_mul_f32 v[120:121], v[50:51], v[24:25] op_sel:[1,0]
	v_pk_fma_f32 v[116:117], v[48:49], v[18:19], v[118:119] op_sel:[0,0,1] op_sel_hi:[1,1,0] neg_lo:[0,0,1] neg_hi:[0,0,1]
	v_pk_fma_f32 v[48:49], v[48:49], v[18:19], v[118:119] op_sel:[0,0,1] op_sel_hi:[0,1,0]
	v_pk_fma_f32 v[124:125], v[52:53], v[26:27], v[122:123] op_sel:[0,0,1] op_sel_hi:[1,1,0] neg_lo:[0,0,1] neg_hi:[0,0,1]
	v_pk_fma_f32 v[52:53], v[52:53], v[26:27], v[122:123] op_sel:[0,0,1] op_sel_hi:[0,1,0]
	v_mov_b32_e32 v115, v43
	v_mov_b32_e32 v127, v55
	;; [unrolled: 1-line block ×3, first 2 shown]
	v_pk_add_f32 v[54:55], v[142:143], v[136:137]
	v_pk_add_f32 v[146:147], v[112:113], v[134:135] neg_lo:[0,1] neg_hi:[0,1]
	v_pk_mul_f32 v[40:41], v[144:145], s[22:23] op_sel:[1,0] op_sel_hi:[0,0]
	v_pk_fma_f32 v[118:119], v[50:51], v[24:25], v[120:121] op_sel:[0,0,1] op_sel_hi:[1,1,0] neg_lo:[0,0,1] neg_hi:[0,0,1]
	v_pk_fma_f32 v[50:51], v[50:51], v[24:25], v[120:121] op_sel:[0,0,1] op_sel_hi:[0,1,0]
	v_mov_b32_e32 v117, v49
	v_mov_b32_e32 v125, v53
	;; [unrolled: 1-line block ×3, first 2 shown]
	v_pk_add_f32 v[52:53], v[112:113], v[134:135]
	v_pk_add_f32 v[148:149], v[114:115], v[132:133] neg_lo:[0,1] neg_hi:[0,1]
	v_pk_mul_f32 v[42:43], v[146:147], s[16:17] op_sel:[1,0] op_sel_hi:[0,0]
	v_pk_fma_f32 v[108:109], v[54:55], s[2:3], v[40:41] op_sel_hi:[1,0,1]
	v_pk_fma_f32 v[110:111], v[54:55], s[2:3], v[40:41] op_sel_hi:[1,0,1] neg_lo:[0,0,1] neg_hi:[0,0,1]
	v_mov_b32_e32 v119, v51
	v_pk_add_f32 v[50:51], v[114:115], v[132:133]
	v_pk_add_f32 v[150:151], v[116:117], v[130:131] neg_lo:[0,1] neg_hi:[0,1]
	v_pk_mul_f32 v[48:49], v[148:149], s[24:25] op_sel:[1,0] op_sel_hi:[0,0]
	v_pk_fma_f32 v[104:105], v[52:53], s[10:11], v[42:43] op_sel_hi:[1,0,1]
	v_pk_fma_f32 v[106:107], v[52:53], s[10:11], v[42:43] op_sel_hi:[1,0,1] neg_lo:[0,0,1] neg_hi:[0,0,1]
	v_mov_b32_e32 v40, v108
	v_mov_b32_e32 v41, v111
	;; [unrolled: 1-line block ×3, first 2 shown]
	v_pk_add_f32 v[46:47], v[116:117], v[130:131]
	v_pk_mul_f32 v[56:57], v[150:151], s[20:21] op_sel:[1,0] op_sel_hi:[0,0]
	v_pk_fma_f32 v[60:61], v[50:51], s[14:15], v[48:49] op_sel_hi:[1,0,1]
	v_pk_fma_f32 v[62:63], v[50:51], s[14:15], v[48:49] op_sel_hi:[1,0,1] neg_lo:[0,0,1] neg_hi:[0,0,1]
	v_mov_b32_e32 v42, v104
	v_mov_b32_e32 v43, v107
	v_pk_add_f32 v[40:41], v[44:45], v[40:41]
	v_mov_b32_e32 v48, v60
	v_mov_b32_e32 v49, v63
	v_pk_add_f32 v[40:41], v[42:43], v[40:41]
	v_pk_fma_f32 v[120:121], v[46:47], s[18:19], v[56:57] op_sel_hi:[1,0,1]
	v_pk_fma_f32 v[122:123], v[46:47], s[18:19], v[56:57] op_sel_hi:[1,0,1] neg_lo:[0,0,1] neg_hi:[0,0,1]
	v_pk_add_f32 v[40:41], v[48:49], v[40:41]
	v_mov_b32_e32 v42, v120
	v_mov_b32_e32 v43, v123
	v_pk_add_f32 v[152:153], v[118:119], v[128:129] neg_lo:[0,1] neg_hi:[0,1]
	v_pk_add_f32 v[40:41], v[42:43], v[40:41]
	s_mov_b32 s24, 0x3f116cb1
	v_pk_add_f32 v[56:57], v[118:119], v[128:129]
	v_pk_mul_f32 v[42:43], v[152:153], s[28:29] op_sel:[1,0] op_sel_hi:[0,0]
	v_pk_fma_f32 v[138:139], v[56:57], s[24:25], v[42:43] op_sel_hi:[1,0,1]
	v_pk_fma_f32 v[140:141], v[56:57], s[24:25], v[42:43] op_sel_hi:[1,0,1] neg_lo:[0,0,1] neg_hi:[0,0,1]
	v_mov_b32_e32 v42, v138
	v_mov_b32_e32 v43, v141
	v_pk_add_f32 v[40:41], v[42:43], v[40:41]
	v_pk_mul_f32 v[42:43], v[144:145], s[28:29] op_sel:[1,0] op_sel_hi:[0,0]
	v_pk_fma_f32 v[154:155], v[54:55], s[24:25], v[42:43] op_sel_hi:[1,0,1]
	v_pk_fma_f32 v[156:157], v[54:55], s[24:25], v[42:43] op_sel_hi:[1,0,1] neg_lo:[0,0,1] neg_hi:[0,0,1]
	v_pk_mul_f32 v[48:49], v[146:147], s[26:27] op_sel:[1,0] op_sel_hi:[0,0]
	v_mov_b32_e32 v42, v154
	v_mov_b32_e32 v43, v157
	v_pk_fma_f32 v[158:159], v[52:53], s[14:15], v[48:49] op_sel_hi:[1,0,1]
	v_pk_fma_f32 v[160:161], v[52:53], s[14:15], v[48:49] op_sel_hi:[1,0,1] neg_lo:[0,0,1] neg_hi:[0,0,1]
	v_pk_add_f32 v[42:43], v[44:45], v[42:43]
	v_mov_b32_e32 v48, v158
	v_mov_b32_e32 v49, v161
	v_pk_add_f32 v[42:43], v[48:49], v[42:43]
	v_pk_mul_f32 v[48:49], v[148:149], s[16:17] op_sel:[1,0] op_sel_hi:[0,0]
	v_pk_fma_f32 v[162:163], v[50:51], s[10:11], v[48:49] op_sel_hi:[1,0,1]
	v_pk_fma_f32 v[164:165], v[50:51], s[10:11], v[48:49] op_sel_hi:[1,0,1] neg_lo:[0,0,1] neg_hi:[0,0,1]
	v_mov_b32_e32 v48, v162
	v_mov_b32_e32 v49, v165
	v_pk_add_f32 v[42:43], v[48:49], v[42:43]
	v_pk_mul_f32 v[48:49], v[150:151], s[40:41] op_sel:[1,0] op_sel_hi:[0,0]
	v_pk_fma_f32 v[170:171], v[46:47], s[34:35], v[48:49] op_sel_hi:[1,0,1]
	v_pk_fma_f32 v[172:173], v[46:47], s[34:35], v[48:49] op_sel_hi:[1,0,1] neg_lo:[0,0,1] neg_hi:[0,0,1]
	;; [unrolled: 6-line block ×3, first 2 shown]
	v_mov_b32_e32 v48, v174
	v_mov_b32_e32 v49, v177
	v_pk_add_f32 v[186:187], v[124:125], v[126:127] neg_lo:[0,1] neg_hi:[0,1]
	v_pk_add_f32 v[42:43], v[48:49], v[42:43]
	v_pk_add_f32 v[58:59], v[124:125], v[126:127]
	v_pk_mul_f32 v[48:49], v[186:187], s[20:21] op_sel:[1,0] op_sel_hi:[0,0]
	v_pk_fma_f32 v[178:179], v[58:59], s[18:19], v[48:49] op_sel_hi:[1,0,1]
	v_pk_fma_f32 v[180:181], v[58:59], s[18:19], v[48:49] op_sel_hi:[1,0,1] neg_lo:[0,0,1] neg_hi:[0,0,1]
	v_mov_b32_e32 v48, v178
	v_mov_b32_e32 v49, v181
	v_pk_add_f32 v[42:43], v[48:49], v[42:43]
	v_pk_mul_f32 v[48:49], v[186:187], s[38:39] op_sel:[1,0] op_sel_hi:[0,0]
	v_pk_fma_f32 v[166:167], v[58:59], s[34:35], v[48:49] op_sel_hi:[1,0,1]
	v_pk_fma_f32 v[168:169], v[58:59], s[34:35], v[48:49] op_sel_hi:[1,0,1] neg_lo:[0,0,1] neg_hi:[0,0,1]
	v_mov_b32_e32 v48, v166
	v_mov_b32_e32 v49, v169
	v_pk_add_f32 v[40:41], v[48:49], v[40:41]
	v_pk_mul_f32 v[48:49], v[144:145], s[36:37] op_sel:[1,0] op_sel_hi:[0,0]
	v_pk_fma_f32 v[182:183], v[54:55], s[18:19], v[48:49] op_sel_hi:[1,0,1]
	v_pk_fma_f32 v[184:185], v[54:55], s[18:19], v[48:49] op_sel_hi:[1,0,1] neg_lo:[0,0,1] neg_hi:[0,0,1]
	v_pk_mul_f32 v[190:191], v[146:147], s[28:29] op_sel:[1,0] op_sel_hi:[0,0]
	v_mov_b32_e32 v48, v182
	v_mov_b32_e32 v49, v185
	v_pk_fma_f32 v[188:189], v[52:53], s[24:25], v[190:191] op_sel_hi:[1,0,1]
	v_pk_fma_f32 v[190:191], v[52:53], s[24:25], v[190:191] op_sel_hi:[1,0,1] neg_lo:[0,0,1] neg_hi:[0,0,1]
	v_pk_add_f32 v[48:49], v[44:45], v[48:49]
	v_mov_b32_e32 v192, v188
	v_mov_b32_e32 v193, v191
	v_pk_mul_f32 v[194:195], v[148:149], s[22:23] op_sel:[1,0] op_sel_hi:[0,0]
	v_pk_add_f32 v[48:49], v[192:193], v[48:49]
	v_pk_fma_f32 v[192:193], v[50:51], s[2:3], v[194:195] op_sel_hi:[1,0,1]
	v_pk_fma_f32 v[194:195], v[50:51], s[2:3], v[194:195] op_sel_hi:[1,0,1] neg_lo:[0,0,1] neg_hi:[0,0,1]
	v_mov_b32_e32 v196, v192
	v_mov_b32_e32 v197, v195
	v_pk_mul_f32 v[198:199], v[150:151], s[26:27] op_sel:[1,0] op_sel_hi:[0,0]
	v_pk_add_f32 v[48:49], v[196:197], v[48:49]
	v_pk_fma_f32 v[196:197], v[46:47], s[14:15], v[198:199] op_sel_hi:[1,0,1]
	v_pk_fma_f32 v[198:199], v[46:47], s[14:15], v[198:199] op_sel_hi:[1,0,1] neg_lo:[0,0,1] neg_hi:[0,0,1]
	;; [unrolled: 6-line block ×4, first 2 shown]
	v_mov_b32_e32 v214, v204
	v_mov_b32_e32 v215, v207
	v_pk_add_f32 v[48:49], v[214:215], v[48:49]
	s_and_saveexec_b64 s[36:37], s[0:1]
	s_cbranch_execz .LBB0_5
; %bb.4:
	v_pk_add_f32 v[142:143], v[44:45], v[142:143]
	v_mov_b32_e32 v185, v183
	v_pk_add_f32 v[112:113], v[142:143], v[112:113]
	v_mov_b32_e32 v157, v155
	;; [unrolled: 2-line block ×3, first 2 shown]
	v_pk_add_f32 v[112:113], v[112:113], v[116:117]
	v_pk_add_f32 v[114:115], v[44:45], v[156:157]
	;; [unrolled: 1-line block ×3, first 2 shown]
	v_mov_b32_e32 v161, v159
	v_pk_add_f32 v[112:113], v[112:113], v[124:125]
	v_mov_b32_e32 v111, v109
	v_pk_add_f32 v[112:113], v[112:113], v[126:127]
	;; [unrolled: 2-line block ×3, first 2 shown]
	v_pk_add_f32 v[114:115], v[160:161], v[114:115]
	v_pk_add_f32 v[112:113], v[112:113], v[130:131]
	v_mov_b32_e32 v165, v163
	v_pk_add_f32 v[112:113], v[112:113], v[132:133]
	v_pk_add_f32 v[108:109], v[44:45], v[110:111]
	;; [unrolled: 1-line block ×3, first 2 shown]
	v_mov_b32_e32 v107, v105
	v_pk_add_f32 v[112:113], v[112:113], v[136:137]
	ds_write_b64 v71, v[112:113]
	v_pk_add_f32 v[112:113], v[44:45], v[184:185]
	v_mov_b32_e32 v214, v145
	v_pk_add_f32 v[112:113], v[190:191], v[112:113]
	v_mov_b32_e32 v215, v144
	;; [unrolled: 2-line block ×5, first 2 shown]
	v_mov_b32_e32 v144, v147
	v_mov_b32_e32 v145, v146
	v_pk_add_f32 v[112:113], v[198:199], v[112:113]
	v_mov_b32_e32 v203, v201
	v_pk_add_f32 v[114:115], v[172:173], v[114:115]
	v_mov_b32_e32 v177, v175
	v_pk_add_f32 v[60:61], v[62:63], v[104:105]
	v_pk_mul_f32 v[62:63], v[214:215], s[26:27] op_sel_hi:[1,0]
	v_pk_add_f32 v[112:113], v[202:203], v[112:113]
	v_mov_b32_e32 v207, v205
	v_pk_add_f32 v[114:115], v[176:177], v[114:115]
	v_mov_b32_e32 v181, v179
	v_pk_fma_f32 v[104:105], v[54:55], s[14:15], v[62:63] op_sel_hi:[1,0,1] neg_lo:[0,0,1] neg_hi:[0,0,1]
	v_pk_fma_f32 v[62:63], v[54:55], s[14:15], v[62:63] op_sel_hi:[1,0,1]
	v_pk_mul_f32 v[108:109], v[144:145], s[40:41] op_sel_hi:[1,0]
	v_lshl_add_u32 v87, v208, 3, v209
	v_pk_add_f32 v[112:113], v[206:207], v[112:113]
	v_pk_add_f32 v[114:115], v[180:181], v[114:115]
	v_mov_b32_e32 v106, v104
	v_mov_b32_e32 v107, v63
	v_pk_fma_f32 v[110:111], v[52:53], s[34:35], v[108:109] op_sel_hi:[1,0,1] neg_lo:[0,0,1] neg_hi:[0,0,1]
	v_pk_fma_f32 v[108:109], v[52:53], s[34:35], v[108:109] op_sel_hi:[1,0,1]
	v_mov_b32_e32 v146, v149
	v_mov_b32_e32 v147, v148
	ds_write2_b64 v87, v[112:113], v[114:115] offset0:50 offset1:100
	v_pk_add_f32 v[106:107], v[44:45], v[106:107]
	v_mov_b32_e32 v112, v110
	v_mov_b32_e32 v113, v109
	v_pk_add_f32 v[106:107], v[112:113], v[106:107]
	v_pk_mul_f32 v[112:113], v[146:147], s[20:21] op_sel_hi:[1,0]
	v_mov_b32_e32 v148, v151
	v_pk_fma_f32 v[114:115], v[50:51], s[18:19], v[112:113] op_sel_hi:[1,0,1] neg_lo:[0,0,1] neg_hi:[0,0,1]
	v_pk_fma_f32 v[112:113], v[50:51], s[18:19], v[112:113] op_sel_hi:[1,0,1]
	v_mov_b32_e32 v149, v150
	v_mov_b32_e32 v116, v114
	;; [unrolled: 1-line block ×3, first 2 shown]
	v_pk_add_f32 v[106:107], v[116:117], v[106:107]
	v_pk_mul_f32 v[116:117], v[148:149], s[22:23] op_sel_hi:[1,0]
	v_mov_b32_e32 v150, v153
	v_pk_fma_f32 v[118:119], v[46:47], s[2:3], v[116:117] op_sel_hi:[1,0,1] neg_lo:[0,0,1] neg_hi:[0,0,1]
	v_pk_fma_f32 v[116:117], v[46:47], s[2:3], v[116:117] op_sel_hi:[1,0,1]
	v_mov_b32_e32 v151, v152
	v_mov_b32_e32 v123, v121
	;; [unrolled: 1-line block ×4, first 2 shown]
	s_mov_b32 s22, 0x3e750f2a
	v_pk_add_f32 v[106:107], v[120:121], v[106:107]
	v_pk_mul_f32 v[120:121], v[150:151], s[22:23] op_sel_hi:[1,0]
	v_pk_add_f32 v[60:61], v[122:123], v[60:61]
	v_pk_fma_f32 v[122:123], v[56:57], s[10:11], v[120:121] op_sel_hi:[1,0,1] neg_lo:[0,0,1] neg_hi:[0,0,1]
	v_pk_fma_f32 v[120:121], v[56:57], s[10:11], v[120:121] op_sel_hi:[1,0,1]
	v_mov_b32_e32 v152, v187
	v_mov_b32_e32 v153, v186
	;; [unrolled: 1-line block ×4, first 2 shown]
	s_mov_b32 s40, 0x3f52af12
	v_pk_add_f32 v[106:107], v[124:125], v[106:107]
	v_pk_mul_f32 v[124:125], v[152:153], s[40:41] op_sel_hi:[1,0]
	v_mov_b32_e32 v141, v139
	v_pk_fma_f32 v[126:127], v[58:59], s[24:25], v[124:125] op_sel_hi:[1,0,1] neg_lo:[0,0,1] neg_hi:[0,0,1]
	v_pk_fma_f32 v[124:125], v[58:59], s[24:25], v[124:125] op_sel_hi:[1,0,1]
	v_pk_add_f32 v[60:61], v[140:141], v[60:61]
	v_mov_b32_e32 v169, v167
	v_mov_b32_e32 v128, v126
	;; [unrolled: 1-line block ×3, first 2 shown]
	v_pk_add_f32 v[60:61], v[168:169], v[60:61]
	v_pk_add_f32 v[106:107], v[128:129], v[106:107]
	ds_write2_b64 v87, v[60:61], v[106:107] offset0:150 offset1:200
	v_pk_mul_f32 v[60:61], v[214:215], s[38:39] op_sel_hi:[1,0]
	v_pk_mul_f32 v[130:131], v[144:145], s[30:31] op_sel_hi:[1,0]
	v_pk_fma_f32 v[106:107], v[54:55], s[34:35], v[60:61] op_sel_hi:[1,0,1] neg_lo:[0,0,1] neg_hi:[0,0,1]
	v_pk_fma_f32 v[60:61], v[54:55], s[34:35], v[60:61] op_sel_hi:[1,0,1]
	v_mov_b32_e32 v128, v106
	v_mov_b32_e32 v129, v61
	v_pk_fma_f32 v[132:133], v[52:53], s[2:3], v[130:131] op_sel_hi:[1,0,1] neg_lo:[0,0,1] neg_hi:[0,0,1]
	v_pk_fma_f32 v[130:131], v[52:53], s[2:3], v[130:131] op_sel_hi:[1,0,1]
	v_pk_add_f32 v[128:129], v[44:45], v[128:129]
	v_mov_b32_e32 v134, v132
	v_mov_b32_e32 v135, v131
	v_pk_add_f32 v[128:129], v[134:135], v[128:129]
	v_pk_mul_f32 v[134:135], v[146:147], s[28:29] op_sel_hi:[1,0]
	v_pk_mul_f32 v[144:145], v[144:145], s[20:21] op_sel_hi:[1,0]
	v_pk_fma_f32 v[136:137], v[50:51], s[24:25], v[134:135] op_sel_hi:[1,0,1] neg_lo:[0,0,1] neg_hi:[0,0,1]
	v_pk_fma_f32 v[134:135], v[50:51], s[24:25], v[134:135] op_sel_hi:[1,0,1]
	v_mov_b32_e32 v138, v136
	v_mov_b32_e32 v139, v135
	v_pk_add_f32 v[128:129], v[138:139], v[128:129]
	v_pk_mul_f32 v[138:139], v[148:149], s[22:23] op_sel_hi:[1,0]
	v_pk_fma_f32 v[164:165], v[52:53], s[18:19], v[144:145] op_sel_hi:[1,0,1] neg_lo:[0,0,1] neg_hi:[0,0,1]
	v_pk_fma_f32 v[140:141], v[46:47], s[10:11], v[138:139] op_sel_hi:[1,0,1] neg_lo:[0,0,1] neg_hi:[0,0,1]
	v_pk_fma_f32 v[138:139], v[46:47], s[10:11], v[138:139] op_sel_hi:[1,0,1]
	v_mov_b32_e32 v142, v140
	v_mov_b32_e32 v143, v139
	v_pk_add_f32 v[128:129], v[142:143], v[128:129]
	v_pk_mul_f32 v[142:143], v[150:151], s[20:21] op_sel_hi:[1,0]
	v_pk_fma_f32 v[52:53], v[52:53], s[18:19], v[144:145] op_sel_hi:[1,0,1]
	v_pk_fma_f32 v[154:155], v[56:57], s[18:19], v[142:143] op_sel_hi:[1,0,1] neg_lo:[0,0,1] neg_hi:[0,0,1]
	v_pk_fma_f32 v[142:143], v[56:57], s[18:19], v[142:143] op_sel_hi:[1,0,1]
	v_mov_b32_e32 v156, v154
	v_mov_b32_e32 v157, v143
	v_pk_add_f32 v[128:129], v[156:157], v[128:129]
	v_pk_mul_f32 v[156:157], v[152:153], s[26:27] op_sel_hi:[1,0]
	v_mov_b32_e32 v144, v164
	v_pk_fma_f32 v[158:159], v[58:59], s[14:15], v[156:157] op_sel_hi:[1,0,1] neg_lo:[0,0,1] neg_hi:[0,0,1]
	v_pk_fma_f32 v[156:157], v[58:59], s[14:15], v[156:157] op_sel_hi:[1,0,1]
	v_mov_b32_e32 v160, v158
	v_mov_b32_e32 v161, v157
	v_pk_add_f32 v[128:129], v[160:161], v[128:129]
	v_pk_mul_f32 v[160:161], v[214:215], s[16:17] op_sel_hi:[1,0]
	v_mov_b32_e32 v145, v53
	v_pk_fma_f32 v[162:163], v[54:55], s[10:11], v[160:161] op_sel_hi:[1,0,1] neg_lo:[0,0,1] neg_hi:[0,0,1]
	v_pk_fma_f32 v[54:55], v[54:55], s[10:11], v[160:161] op_sel_hi:[1,0,1]
	v_mov_b32_e32 v160, v162
	v_mov_b32_e32 v161, v55
	v_pk_add_f32 v[160:161], v[44:45], v[160:161]
	v_pk_mul_f32 v[146:147], v[146:147], s[38:39] op_sel_hi:[1,0]
	v_pk_add_f32 v[144:145], v[144:145], v[160:161]
	v_pk_fma_f32 v[160:161], v[50:51], s[34:35], v[146:147] op_sel_hi:[1,0,1] neg_lo:[0,0,1] neg_hi:[0,0,1]
	v_pk_fma_f32 v[50:51], v[50:51], s[34:35], v[146:147] op_sel_hi:[1,0,1]
	v_mov_b32_e32 v146, v160
	v_mov_b32_e32 v147, v51
	v_pk_add_f32 v[144:145], v[146:147], v[144:145]
	v_pk_mul_f32 v[146:147], v[148:149], s[40:41] op_sel_hi:[1,0]
	v_mov_b32_e32 v55, v163
	v_pk_fma_f32 v[148:149], v[46:47], s[24:25], v[146:147] op_sel_hi:[1,0,1] neg_lo:[0,0,1] neg_hi:[0,0,1]
	v_pk_fma_f32 v[46:47], v[46:47], s[24:25], v[146:147] op_sel_hi:[1,0,1]
	v_mov_b32_e32 v146, v148
	v_mov_b32_e32 v147, v47
	v_pk_add_f32 v[144:145], v[146:147], v[144:145]
	v_pk_mul_f32 v[146:147], v[150:151], s[26:27] op_sel_hi:[1,0]
	v_pk_add_f32 v[54:55], v[44:45], v[54:55]
	v_pk_fma_f32 v[150:151], v[56:57], s[14:15], v[146:147] op_sel_hi:[1,0,1] neg_lo:[0,0,1] neg_hi:[0,0,1]
	v_pk_fma_f32 v[56:57], v[56:57], s[14:15], v[146:147] op_sel_hi:[1,0,1]
	v_mov_b32_e32 v146, v150
	v_mov_b32_e32 v147, v57
	v_pk_add_f32 v[144:145], v[146:147], v[144:145]
	v_pk_mul_f32 v[146:147], v[152:153], s[30:31] op_sel_hi:[1,0]
	v_mov_b32_e32 v53, v165
	v_pk_fma_f32 v[152:153], v[58:59], s[2:3], v[146:147] op_sel_hi:[1,0,1] neg_lo:[0,0,1] neg_hi:[0,0,1]
	v_pk_fma_f32 v[58:59], v[58:59], s[2:3], v[146:147] op_sel_hi:[1,0,1]
	v_mov_b32_e32 v146, v152
	v_mov_b32_e32 v147, v59
	v_pk_add_f32 v[144:145], v[146:147], v[144:145]
	v_add_u32_e32 v47, 0x400, v87
	v_pk_add_f32 v[52:53], v[52:53], v[54:55]
	v_mov_b32_e32 v51, v161
	ds_write2_b64 v47, v[128:129], v[144:145] offset0:122 offset1:172
	v_pk_add_f32 v[50:51], v[50:51], v[52:53]
	v_mov_b32_e32 v47, v149
	v_mov_b32_e32 v61, v107
	;; [unrolled: 1-line block ×3, first 2 shown]
	v_pk_add_f32 v[46:47], v[46:47], v[50:51]
	v_pk_add_f32 v[50:51], v[44:45], v[60:61]
	;; [unrolled: 1-line block ×3, first 2 shown]
	v_mov_b32_e32 v109, v111
	v_mov_b32_e32 v131, v133
	v_pk_add_f32 v[44:45], v[108:109], v[44:45]
	v_mov_b32_e32 v113, v115
	v_pk_add_f32 v[50:51], v[130:131], v[50:51]
	;; [unrolled: 2-line block ×5, first 2 shown]
	v_mov_b32_e32 v121, v123
	v_mov_b32_e32 v57, v151
	v_pk_add_f32 v[50:51], v[138:139], v[50:51]
	v_mov_b32_e32 v143, v155
	v_pk_add_f32 v[44:45], v[120:121], v[44:45]
	v_mov_b32_e32 v125, v127
	v_pk_add_f32 v[46:47], v[56:57], v[46:47]
	v_mov_b32_e32 v59, v153
	v_pk_add_f32 v[50:51], v[142:143], v[50:51]
	v_mov_b32_e32 v157, v159
	v_add_u32_e32 v52, 0x800, v87
	v_pk_add_f32 v[44:45], v[124:125], v[44:45]
	v_pk_add_f32 v[46:47], v[58:59], v[46:47]
	;; [unrolled: 1-line block ×3, first 2 shown]
	ds_write2_b64 v52, v[44:45], v[40:41] offset0:194 offset1:244
	v_add_u32_e32 v44, 0x1000, v87
	ds_write2_b64 v52, v[46:47], v[50:51] offset0:94 offset1:144
	ds_write2_b64 v44, v[42:43], v[48:49] offset0:38 offset1:88
.LBB0_5:
	s_or_b64 exec, exec, s[36:37]
	v_mov_b32_e32 v87, 0
	v_lshl_add_u64 v[44:45], s[8:9], 0, v[86:87]
	s_mov_b64 s[2:3], 0x1450
	v_lshl_add_u64 v[46:47], v[44:45], 0, s[2:3]
	s_movk_i32 s2, 0x2000
	v_add_co_u32_e32 v50, vcc, 0x1000, v44
	v_add_co_u32_e64 v52, s[2:3], s2, v44
	s_nop 0
	v_addc_co_u32_e32 v51, vcc, 0, v45, vcc
	v_addc_co_u32_e64 v53, s[2:3], 0, v45, s[2:3]
	s_waitcnt lgkmcnt(0)
	s_barrier
	global_load_dwordx2 v[86:87], v[46:47], off offset:520
	global_load_dwordx2 v[108:109], v[46:47], off offset:1040
	;; [unrolled: 1-line block ×10, first 2 shown]
	v_add_u32_e32 v50, 0x800, v71
	ds_read2_b64 v[44:47], v71 offset1:65
	ds_read2_b64 v[52:55], v71 offset0:130 offset1:195
	v_add_u32_e32 v51, 0x1000, v71
	ds_read2_b64 v[56:59], v50 offset0:4 offset1:69
	ds_read2_b64 v[60:63], v50 offset0:134 offset1:199
	;; [unrolled: 1-line block ×3, first 2 shown]
	s_mov_b32 s2, 0x3f737871
	s_mov_b32 s8, 0x3f167918
	;; [unrolled: 1-line block ×5, first 2 shown]
	s_waitcnt vmcnt(9) lgkmcnt(4)
	v_mul_f32_e32 v126, v47, v87
	v_mul_f32_e32 v127, v46, v87
	s_waitcnt vmcnt(8) lgkmcnt(3)
	v_mul_f32_e32 v128, v53, v109
	v_mul_f32_e32 v87, v52, v109
	s_waitcnt vmcnt(7)
	v_mul_f32_e32 v129, v55, v111
	v_mul_f32_e32 v109, v54, v111
	s_waitcnt vmcnt(6) lgkmcnt(2)
	v_mul_f32_e32 v130, v57, v113
	v_mul_f32_e32 v111, v56, v113
	s_waitcnt vmcnt(5)
	v_mul_f32_e32 v131, v59, v115
	v_mul_f32_e32 v113, v58, v115
	s_waitcnt vmcnt(4) lgkmcnt(1)
	v_mul_f32_e32 v132, v61, v117
	v_mul_f32_e32 v115, v60, v117
	s_waitcnt vmcnt(3) lgkmcnt(0)
	v_mul_f32_e32 v133, v105, v119
	v_mul_f32_e32 v117, v104, v119
	s_waitcnt vmcnt(2)
	v_mul_f32_e32 v134, v107, v121
	v_mul_f32_e32 v119, v106, v121
	v_fma_f32 v126, v46, v86, -v126
	v_fmac_f32_e32 v127, v47, v86
	s_waitcnt vmcnt(0)
	v_mul_f32_e32 v46, v63, v125
	v_mul_f32_e32 v47, v62, v125
	;; [unrolled: 1-line block ×4, first 2 shown]
	v_fma_f32 v86, v52, v108, -v128
	v_fmac_f32_e32 v87, v53, v108
	v_fma_f32 v108, v54, v110, -v129
	v_fmac_f32_e32 v109, v55, v110
	;; [unrolled: 2-line block ×9, first 2 shown]
	ds_write2_b64 v71, v[86:87], v[108:109] offset0:130 offset1:195
	ds_write2_b64 v50, v[110:111], v[112:113] offset0:4 offset1:69
	;; [unrolled: 1-line block ×3, first 2 shown]
	ds_write2_b64 v71, v[120:121], v[126:127] offset1:65
	ds_write2_b64 v50, v[114:115], v[46:47] offset0:134 offset1:199
	s_waitcnt lgkmcnt(0)
	s_barrier
	ds_read2_b64 v[44:47], v71 offset1:65
	ds_read2_b64 v[52:55], v71 offset0:130 offset1:195
	ds_read2_b64 v[56:59], v51 offset0:8 offset1:73
	;; [unrolled: 1-line block ×4, first 2 shown]
	s_waitcnt lgkmcnt(0)
	v_mov_b32_e32 v112, v54
	v_pk_add_f32 v[118:119], v[52:53], v[56:57] neg_lo:[0,1] neg_hi:[0,1]
	v_pk_add_f32 v[126:127], v[52:53], v[60:61] neg_lo:[0,1] neg_hi:[0,1]
	v_pk_add_f32 v[116:117], v[60:61], v[104:105]
	v_pk_mul_f32 v[120:121], v[118:119], s[2:3] op_sel_hi:[1,0]
	v_pk_fma_f32 v[116:117], v[116:117], 0.5, v[44:45] op_sel_hi:[1,0,1] neg_lo:[1,0,0] neg_hi:[1,0,0]
	v_pk_add_f32 v[122:123], v[60:61], v[104:105] neg_lo:[0,1] neg_hi:[0,1]
	v_pk_add_f32 v[128:129], v[56:57], v[104:105] neg_lo:[0,1] neg_hi:[0,1]
	v_mov_b32_e32 v110, v62
	v_mov_b32_e32 v111, v106
	;; [unrolled: 1-line block ×3, first 2 shown]
	v_pk_mul_f32 v[124:125], v[122:123], s[8:9] op_sel_hi:[1,0]
	v_pk_add_f32 v[126:127], v[126:127], v[128:129]
	v_pk_add_f32 v[128:129], v[116:117], v[120:121] op_sel:[0,1] op_sel_hi:[1,0] neg_lo:[0,1] neg_hi:[0,1]
	v_pk_add_f32 v[108:109], v[54:55], v[58:59]
	v_pk_add_f32 v[110:111], v[110:111], v[112:113] neg_lo:[0,1] neg_hi:[0,1]
	v_pk_add_f32 v[112:113], v[46:47], v[54:55]
	v_pk_add_f32 v[116:117], v[116:117], v[120:121] op_sel:[0,1] op_sel_hi:[1,0]
	v_pk_add_f32 v[120:121], v[128:129], v[124:125] op_sel:[0,1] op_sel_hi:[1,0] neg_lo:[0,1] neg_hi:[0,1]
	v_pk_add_f32 v[128:129], v[62:63], v[106:107]
	v_fma_f32 v138, -0.5, v108, v46
	v_pk_add_f32 v[112:113], v[112:113], v[62:63]
	v_fma_f32 v139, -0.5, v109, v47
	v_pk_fma_f32 v[46:47], v[128:129], 0.5, v[46:47] op_sel_hi:[1,0,1] neg_lo:[1,0,0] neg_hi:[1,0,0]
	v_pk_add_f32 v[128:129], v[54:55], v[58:59] neg_lo:[0,1] neg_hi:[0,1]
	v_mov_b32_e32 v108, v111
	v_pk_add_f32 v[112:113], v[112:113], v[106:107]
	v_pk_mul_f32 v[130:131], v[128:129], s[2:3] op_sel_hi:[1,0]
	v_pk_add_f32 v[134:135], v[62:63], v[106:107] neg_lo:[0,1] neg_hi:[0,1]
	v_pk_add_f32 v[110:111], v[110:111], v[108:109]
	v_pk_add_f32 v[112:113], v[112:113], v[58:59]
	v_mov_b32_e32 v108, v63
	v_mov_b32_e32 v109, v107
	;; [unrolled: 1-line block ×4, first 2 shown]
	v_pk_add_f32 v[116:117], v[116:117], v[124:125] op_sel:[0,1] op_sel_hi:[1,0]
	v_pk_add_f32 v[132:133], v[46:47], v[130:131] op_sel:[0,1] op_sel_hi:[1,0]
	v_pk_mul_f32 v[136:137], v[134:135], s[8:9] op_sel_hi:[1,0]
	v_pk_add_f32 v[54:55], v[54:55], v[62:63] neg_lo:[0,1] neg_hi:[0,1]
	v_pk_add_f32 v[58:59], v[58:59], v[106:107] neg_lo:[0,1] neg_hi:[0,1]
	v_pk_add_f32 v[46:47], v[46:47], v[130:131] op_sel:[0,1] op_sel_hi:[1,0] neg_lo:[0,1] neg_hi:[0,1]
	v_pk_add_f32 v[108:109], v[108:109], v[114:115] neg_lo:[0,1] neg_hi:[0,1]
	v_mov_b32_e32 v124, v120
	v_mov_b32_e32 v125, v117
	v_pk_add_f32 v[132:133], v[136:137], v[132:133] op_sel:[1,0] op_sel_hi:[0,1]
	v_pk_add_f32 v[54:55], v[54:55], v[58:59]
	v_pk_add_f32 v[46:47], v[46:47], v[136:137] op_sel:[0,1] op_sel_hi:[1,0] neg_lo:[0,1] neg_hi:[0,1]
	v_mov_b32_e32 v114, v109
	v_pk_fma_f32 v[124:125], v[126:127], s[10:11], v[124:125] op_sel_hi:[1,0,1]
	v_pk_fma_f32 v[58:59], v[54:55], s[10:11], v[132:133] op_sel_hi:[1,0,1]
	v_mov_b32_e32 v111, v129
	s_mov_b32 s11, s8
	v_mov_b32_e32 v132, v46
	v_pk_add_f32 v[86:87], v[44:45], v[52:53]
	v_pk_add_f32 v[114:115], v[108:109], v[114:115]
	v_pk_mul_f32 v[62:63], v[110:111], s[10:11]
	v_pk_fma_f32 v[110:111], v[54:55], s[10:11], v[132:133] op_sel_hi:[1,0,1]
	v_pk_add_f32 v[86:87], v[86:87], v[60:61]
	v_mov_b32_e32 v115, v128
	v_pk_mul_f32 v[128:129], v[110:111], s[8:9] op_sel_hi:[1,0]
	v_pk_add_f32 v[86:87], v[86:87], v[104:105]
	v_pk_fma_f32 v[130:131], v[110:111], s[14:15], v[128:129] op_sel:[0,0,1] op_sel_hi:[1,0,0] neg_lo:[0,0,1] neg_hi:[0,0,1]
	v_pk_fma_f32 v[110:111], v[110:111], s[14:15], v[128:129] op_sel:[0,0,1] op_sel_hi:[1,0,0]
	v_pk_add_f32 v[86:87], v[86:87], v[56:57]
	v_mov_b32_e32 v131, v111
	v_pk_add_f32 v[108:109], v[86:87], v[112:113]
	v_pk_add_f32 v[110:111], v[124:125], v[130:131]
	s_barrier
	v_fmamk_f32 v106, v135, 0x3f737871, v138
	v_fmac_f32_e32 v138, 0xbf737871, v135
	ds_write_b128 v210, v[108:111]
	v_pk_add_f32 v[108:109], v[52:53], v[56:57]
	v_pk_add_f32 v[52:53], v[60:61], v[52:53] neg_lo:[0,1] neg_hi:[0,1]
	v_pk_add_f32 v[56:57], v[104:105], v[56:57] neg_lo:[0,1] neg_hi:[0,1]
	v_sub_f32_e32 v106, v106, v63
	v_add_f32_e32 v63, v63, v138
	v_pk_fma_f32 v[44:45], v[108:109], 0.5, v[44:45] op_sel_hi:[1,0,1] neg_lo:[1,0,0] neg_hi:[1,0,0]
	v_pk_add_f32 v[52:53], v[52:53], v[56:57]
	v_pk_mul_f32 v[56:57], v[122:123], s[2:3] op_sel_hi:[1,0]
	v_add_f32_e32 v106, v62, v106
	v_add_f32_e32 v62, v62, v63
	v_pk_fma_f32 v[54:55], v[54:55], s[10:11], v[46:47] op_sel_hi:[1,0,1]
	v_fmamk_f32 v63, v134, 0xbf737871, v139
	v_pk_mul_f32 v[46:47], v[114:115], s[10:11]
	v_pk_mul_f32 v[60:61], v[118:119], s[8:9] op_sel_hi:[1,0]
	v_pk_add_f32 v[104:105], v[44:45], v[56:57] op_sel:[0,1] op_sel_hi:[1,0]
	v_pk_add_f32 v[44:45], v[44:45], v[56:57] op_sel:[0,1] op_sel_hi:[1,0] neg_lo:[0,1] neg_hi:[0,1]
	v_add_f32_e32 v63, v47, v63
	v_fmac_f32_e32 v139, 0x3f737871, v134
	v_pk_add_f32 v[56:57], v[44:45], v[60:61] op_sel:[0,1] op_sel_hi:[1,0]
	v_pk_add_f32 v[60:61], v[104:105], v[60:61] op_sel:[0,1] op_sel_hi:[1,0] neg_lo:[0,1] neg_hi:[0,1]
	v_add_f32_e32 v114, v46, v63
	v_sub_f32_e32 v47, v139, v47
	v_mov_b32_e32 v44, v60
	v_mov_b32_e32 v45, v57
	s_mov_b32 s3, s10
	v_add_f32_e32 v46, v46, v47
	v_pk_fma_f32 v[104:105], v[52:53], s[10:11], v[44:45] op_sel_hi:[1,0,1]
	s_mov_b32 s11, s2
	v_pk_mul_f32 v[44:45], v[114:115], s[2:3] op_sel_hi:[0,1]
	v_pk_fma_f32 v[108:109], v[106:107], s[10:11], v[44:45] neg_lo:[0,0,1] neg_hi:[0,0,1]
	v_pk_fma_f32 v[44:45], v[106:107], s[10:11], v[44:45] op_sel_hi:[0,1,1]
	s_mov_b32 s14, 0xbe9e377a
	s_mov_b32 s15, s2
	v_pk_mul_f32 v[46:47], v[46:47], s[2:3] op_sel_hi:[0,1]
	v_mov_b32_e32 v57, v61
	v_mov_b32_e32 v109, v45
	v_pk_fma_f32 v[62:63], v[62:63], s[14:15], v[46:47] op_sel_hi:[0,1,1] neg_lo:[0,0,1] neg_hi:[0,0,1]
	v_pk_fma_f32 v[52:53], v[52:53], s[10:11], v[56:57] op_sel_hi:[1,0,1]
	s_mov_b32 s14, 0xbf4f1bbd
	v_pk_add_f32 v[44:45], v[104:105], v[108:109]
	v_pk_add_f32 v[46:47], v[52:53], v[62:63]
	s_mov_b32 s17, s14
	ds_write_b128 v210, v[44:47] offset:16
	v_mov_b32_e32 v117, v121
	s_mov_b32 s15, s8
	v_pk_mul_f32 v[44:45], v[54:55], s[16:17] op_sel:[1,0]
	v_pk_fma_f32 v[56:57], v[126:127], s[10:11], v[116:117] op_sel_hi:[1,0,1]
	v_pk_fma_f32 v[54:55], v[58:59], s[14:15], v[44:45] op_sel_hi:[0,1,1]
	v_pk_add_f32 v[44:45], v[56:57], v[54:55]
	v_pk_add_f32 v[46:47], v[86:87], v[112:113] neg_lo:[0,1] neg_hi:[0,1]
	ds_write_b128 v210, v[44:47] offset:32
	v_pk_add_f32 v[44:45], v[124:125], v[130:131] neg_lo:[0,1] neg_hi:[0,1]
	v_pk_add_f32 v[46:47], v[104:105], v[108:109] neg_lo:[0,1] neg_hi:[0,1]
	ds_write_b128 v210, v[44:47] offset:48
	v_pk_add_f32 v[44:45], v[52:53], v[62:63] neg_lo:[0,1] neg_hi:[0,1]
	v_pk_add_f32 v[46:47], v[56:57], v[54:55] neg_lo:[0,1] neg_hi:[0,1]
	ds_write_b128 v210, v[44:47] offset:64
	s_waitcnt lgkmcnt(0)
	s_barrier
	ds_read2_b64 v[44:47], v50 offset0:134 offset1:199
	ds_read2_b64 v[52:55], v51 offset0:8 offset1:73
	s_waitcnt lgkmcnt(1)
	v_pk_mul_f32 v[56:57], v[102:103], v[44:45]
	s_nop 0
	v_pk_fma_f32 v[86:87], v[4:5], v[44:45], v[56:57] op_sel:[0,0,1] op_sel_hi:[1,1,0]
	v_pk_fma_f32 v[4:5], v[4:5], v[44:45], v[56:57] op_sel:[0,0,1] op_sel_hi:[1,1,0] neg_lo:[0,0,1] neg_hi:[0,0,1]
	ds_read2_b64 v[56:59], v71 offset0:130 offset1:195
	ds_read2_b64 v[60:63], v71 offset1:65
	ds_read2_b64 v[102:105], v50 offset0:4 offset1:69
	v_mov_b32_e32 v87, v5
	s_waitcnt lgkmcnt(3)
	v_pk_mul_f32 v[4:5], v[92:93], v[52:53]
	s_waitcnt lgkmcnt(0)
	v_pk_fma_f32 v[92:93], v[6:7], v[52:53], v[4:5] op_sel:[0,0,1] op_sel_hi:[1,1,0]
	v_pk_fma_f32 v[4:5], v[6:7], v[52:53], v[4:5] op_sel:[0,0,1] op_sel_hi:[1,1,0] neg_lo:[0,0,1] neg_hi:[0,0,1]
	s_barrier
	v_mov_b32_e32 v93, v5
	v_pk_mul_f32 v[4:5], v[100:101], v[56:57]
	v_pk_add_f32 v[100:101], v[92:93], v[86:87] neg_lo:[0,1] neg_hi:[0,1]
	v_pk_fma_f32 v[6:7], v[0:1], v[56:57], v[4:5] op_sel:[0,0,1] op_sel_hi:[1,1,0]
	v_pk_fma_f32 v[0:1], v[0:1], v[56:57], v[4:5] op_sel:[0,0,1] op_sel_hi:[1,1,0] neg_lo:[0,0,1] neg_hi:[0,0,1]
	s_nop 0
	v_mov_b32_e32 v7, v1
	v_pk_mul_f32 v[0:1], v[94:95], v[102:103]
	v_pk_add_f32 v[52:53], v[6:7], v[92:93] neg_lo:[0,1] neg_hi:[0,1]
	v_pk_fma_f32 v[4:5], v[2:3], v[102:103], v[0:1] op_sel:[0,0,1] op_sel_hi:[1,1,0]
	v_pk_fma_f32 v[0:1], v[2:3], v[102:103], v[0:1] op_sel:[0,0,1] op_sel_hi:[1,1,0] neg_lo:[0,0,1] neg_hi:[0,0,1]
	v_pk_mul_f32 v[44:45], v[52:53], s[2:3] op_sel_hi:[1,0]
	v_mov_b32_e32 v5, v1
	v_pk_add_f32 v[0:1], v[4:5], v[86:87]
	v_pk_add_f32 v[56:57], v[4:5], v[86:87] neg_lo:[0,1] neg_hi:[0,1]
	v_pk_fma_f32 v[2:3], v[0:1], 0.5, v[60:61] op_sel_hi:[1,0,1] neg_lo:[1,0,0] neg_hi:[1,0,0]
	v_pk_mul_f32 v[94:95], v[56:57], s[8:9] op_sel_hi:[1,0]
	v_pk_add_f32 v[102:103], v[2:3], v[44:45] op_sel:[0,1] op_sel_hi:[1,0] neg_lo:[0,1] neg_hi:[0,1]
	v_pk_add_f32 v[2:3], v[2:3], v[44:45] op_sel:[0,1] op_sel_hi:[1,0]
	v_pk_add_f32 v[0:1], v[6:7], v[4:5] neg_lo:[0,1] neg_hi:[0,1]
	v_pk_add_f32 v[44:45], v[2:3], v[94:95] op_sel:[0,1] op_sel_hi:[1,0]
	v_pk_add_f32 v[94:95], v[102:103], v[94:95] op_sel:[0,1] op_sel_hi:[1,0] neg_lo:[0,1] neg_hi:[0,1]
	v_pk_add_f32 v[100:101], v[0:1], v[100:101]
	v_pk_add_f32 v[0:1], v[60:61], v[6:7]
	v_mov_b32_e32 v2, v94
	v_mov_b32_e32 v3, v45
	;; [unrolled: 1-line block ×3, first 2 shown]
	v_pk_add_f32 v[94:95], v[6:7], v[92:93]
	v_pk_add_f32 v[0:1], v[0:1], v[4:5]
	v_pk_fma_f32 v[60:61], v[94:95], 0.5, v[60:61] op_sel_hi:[1,0,1] neg_lo:[1,0,0] neg_hi:[1,0,0]
	v_pk_mul_f32 v[56:57], v[56:57], s[2:3] op_sel_hi:[1,0]
	v_pk_add_f32 v[4:5], v[4:5], v[6:7] neg_lo:[0,1] neg_hi:[0,1]
	v_pk_add_f32 v[6:7], v[86:87], v[92:93] neg_lo:[0,1] neg_hi:[0,1]
	v_pk_mul_f32 v[52:53], v[52:53], s[8:9] op_sel_hi:[1,0]
	v_pk_add_f32 v[6:7], v[4:5], v[6:7]
	v_pk_add_f32 v[4:5], v[60:61], v[56:57] op_sel:[0,1] op_sel_hi:[1,0]
	v_pk_add_f32 v[56:57], v[60:61], v[56:57] op_sel:[0,1] op_sel_hi:[1,0] neg_lo:[0,1] neg_hi:[0,1]
	v_pk_add_f32 v[0:1], v[0:1], v[86:87]
	v_pk_add_f32 v[56:57], v[56:57], v[52:53] op_sel:[0,1] op_sel_hi:[1,0]
	v_pk_add_f32 v[52:53], v[4:5], v[52:53] op_sel:[0,1] op_sel_hi:[1,0] neg_lo:[0,1] neg_hi:[0,1]
	v_mov_b32_e32 v5, v57
	v_mov_b32_e32 v4, v52
	;; [unrolled: 1-line block ×3, first 2 shown]
	v_pk_mul_f32 v[52:53], v[98:99], v[58:59]
	v_pk_fma_f32 v[4:5], v[6:7], s[10:11], v[4:5] op_sel_hi:[1,0,1]
	v_pk_fma_f32 v[6:7], v[6:7], s[10:11], v[56:57] op_sel_hi:[1,0,1]
	v_pk_fma_f32 v[56:57], v[8:9], v[58:59], v[52:53] op_sel:[0,0,1] op_sel_hi:[1,1,0]
	v_pk_fma_f32 v[8:9], v[8:9], v[58:59], v[52:53] op_sel:[0,0,1] op_sel_hi:[1,1,0] neg_lo:[0,0,1] neg_hi:[0,0,1]
	v_pk_add_f32 v[0:1], v[0:1], v[92:93]
	v_mov_b32_e32 v57, v9
	v_pk_mul_f32 v[8:9], v[88:89], v[104:105]
	v_pk_fma_f32 v[2:3], v[100:101], s[10:11], v[2:3] op_sel_hi:[1,0,1]
	v_pk_fma_f32 v[52:53], v[10:11], v[104:105], v[8:9] op_sel:[0,0,1] op_sel_hi:[1,1,0]
	v_pk_fma_f32 v[8:9], v[10:11], v[104:105], v[8:9] op_sel:[0,0,1] op_sel_hi:[1,1,0] neg_lo:[0,0,1] neg_hi:[0,0,1]
	v_pk_fma_f32 v[44:45], v[100:101], s[10:11], v[44:45] op_sel_hi:[1,0,1]
	v_mov_b32_e32 v53, v9
	v_pk_mul_f32 v[8:9], v[96:97], v[46:47]
	s_nop 0
	v_pk_fma_f32 v[10:11], v[12:13], v[46:47], v[8:9] op_sel:[0,0,1] op_sel_hi:[1,1,0]
	v_pk_fma_f32 v[8:9], v[12:13], v[46:47], v[8:9] op_sel:[0,0,1] op_sel_hi:[1,1,0] neg_lo:[0,0,1] neg_hi:[0,0,1]
	s_nop 0
	v_mov_b32_e32 v11, v9
	v_pk_mul_f32 v[8:9], v[90:91], v[54:55]
	v_pk_add_f32 v[58:59], v[52:53], v[10:11] neg_lo:[0,1] neg_hi:[0,1]
	v_pk_fma_f32 v[12:13], v[14:15], v[54:55], v[8:9] op_sel:[0,0,1] op_sel_hi:[1,1,0]
	v_pk_fma_f32 v[8:9], v[14:15], v[54:55], v[8:9] op_sel:[0,0,1] op_sel_hi:[1,1,0] neg_lo:[0,0,1] neg_hi:[0,0,1]
	s_nop 0
	v_mov_b32_e32 v13, v9
	v_pk_add_f32 v[8:9], v[56:57], v[12:13]
	v_pk_add_f32 v[14:15], v[10:11], v[12:13] neg_lo:[0,1] neg_hi:[0,1]
	v_pk_fma_f32 v[60:61], v[8:9], 0.5, v[62:63] op_sel_hi:[1,0,1] neg_lo:[1,0,0] neg_hi:[1,0,0]
	v_pk_add_f32 v[8:9], v[52:53], v[56:57] neg_lo:[0,1] neg_hi:[0,1]
	v_pk_add_f32 v[54:55], v[56:57], v[12:13] neg_lo:[0,1] neg_hi:[0,1]
	v_pk_add_f32 v[86:87], v[8:9], v[14:15]
	v_pk_add_f32 v[8:9], v[62:63], v[56:57]
	v_pk_add_f32 v[14:15], v[56:57], v[52:53] neg_lo:[0,1] neg_hi:[0,1]
	v_pk_add_f32 v[8:9], v[8:9], v[52:53]
	s_nop 0
	v_pk_add_f32 v[8:9], v[8:9], v[10:11]
	s_nop 0
	v_pk_add_f32 v[46:47], v[8:9], v[12:13]
	v_pk_add_f32 v[8:9], v[52:53], v[10:11]
	v_pk_add_f32 v[10:11], v[12:13], v[10:11] neg_lo:[0,1] neg_hi:[0,1]
	v_pk_fma_f32 v[8:9], v[8:9], 0.5, v[62:63] op_sel_hi:[1,0,1] neg_lo:[1,0,0] neg_hi:[1,0,0]
	v_pk_add_f32 v[10:11], v[14:15], v[10:11]
	v_pk_fma_f32 v[12:13], v[54:55], s[2:3], v[8:9] op_sel:[1,0,0] op_sel_hi:[0,0,1] neg_lo:[1,0,0] neg_hi:[1,0,0]
	v_pk_fma_f32 v[8:9], v[54:55], s[2:3], v[8:9] op_sel:[1,0,0] op_sel_hi:[0,0,1]
	v_pk_fma_f32 v[14:15], v[58:59], s[8:9], v[8:9] op_sel:[1,0,0] op_sel_hi:[0,0,1]
	v_pk_fma_f32 v[12:13], v[58:59], s[8:9], v[12:13] op_sel:[1,0,0] op_sel_hi:[0,0,1] neg_lo:[1,0,0] neg_hi:[1,0,0]
	v_mov_b32_e32 v8, v12
	v_mov_b32_e32 v9, v15
	;; [unrolled: 1-line block ×3, first 2 shown]
	v_pk_fma_f32 v[8:9], v[10:11], s[10:11], v[8:9] op_sel_hi:[1,0,1]
	v_pk_fma_f32 v[14:15], v[10:11], s[10:11], v[14:15] op_sel_hi:[1,0,1]
	v_pk_fma_f32 v[10:11], v[58:59], s[2:3], v[60:61] op_sel:[1,0,0] op_sel_hi:[0,0,1]
	v_pk_fma_f32 v[12:13], v[58:59], s[2:3], v[60:61] op_sel:[1,0,0] op_sel_hi:[0,0,1] neg_lo:[1,0,0] neg_hi:[1,0,0]
	v_pk_fma_f32 v[12:13], v[54:55], s[8:9], v[12:13] op_sel:[1,0,0] op_sel_hi:[0,0,1]
	v_pk_fma_f32 v[52:53], v[54:55], s[8:9], v[10:11] op_sel:[1,0,0] op_sel_hi:[0,0,1] neg_lo:[1,0,0] neg_hi:[1,0,0]
	v_mov_b32_e32 v10, v52
	v_mov_b32_e32 v11, v13
	;; [unrolled: 1-line block ×3, first 2 shown]
	v_pk_fma_f32 v[10:11], v[86:87], s[10:11], v[10:11] op_sel_hi:[1,0,1]
	v_pk_fma_f32 v[12:13], v[86:87], s[10:11], v[12:13] op_sel_hi:[1,0,1]
	ds_write2_b64 v211, v[0:1], v[2:3] offset1:10
	ds_write2_b64 v211, v[4:5], v[6:7] offset0:20 offset1:30
	ds_write_b64 v211, v[44:45] offset:320
	ds_write2_b64 v212, v[46:47], v[8:9] offset1:10
	ds_write2_b64 v212, v[10:11], v[12:13] offset0:20 offset1:30
	ds_write_b64 v212, v[14:15] offset:320
	s_waitcnt lgkmcnt(0)
	s_barrier
	s_and_saveexec_b64 s[2:3], s[0:1]
	s_cbranch_execz .LBB0_7
; %bb.6:
	ds_read2_b64 v[0:3], v71 offset1:50
	ds_read2_b64 v[4:7], v71 offset0:100 offset1:150
	ds_read2_b64 v[44:47], v71 offset0:200 offset1:250
	;; [unrolled: 1-line block ×4, first 2 shown]
	v_add_u32_e32 v40, 0xc00, v71
	ds_read2_b64 v[40:43], v40 offset0:116 offset1:166
	ds_read_b64 v[48:49], v71 offset:4800
.LBB0_7:
	s_or_b64 exec, exec, s[2:3]
	s_and_saveexec_b64 s[2:3], s[0:1]
	s_cbranch_execz .LBB0_9
; %bb.8:
	s_waitcnt lgkmcnt(0)
	v_pk_mul_f32 v[50:51], v[38:39], v[48:49] op_sel:[0,1]
	v_pk_mul_f32 v[54:55], v[36:37], v[42:43] op_sel:[0,1]
	;; [unrolled: 1-line block ×3, first 2 shown]
	v_pk_fma_f32 v[96:97], v[38:39], v[48:49], v[50:51] op_sel:[0,0,1] op_sel_hi:[1,1,0]
	v_pk_fma_f32 v[38:39], v[38:39], v[48:49], v[50:51] op_sel:[0,0,1] op_sel_hi:[1,0,0] neg_lo:[1,0,0] neg_hi:[1,0,0]
	v_pk_fma_f32 v[50:51], v[36:37], v[42:43], v[54:55] op_sel:[0,0,1] op_sel_hi:[1,1,0]
	v_pk_fma_f32 v[36:37], v[36:37], v[42:43], v[54:55] op_sel:[0,0,1] op_sel_hi:[1,0,0] neg_lo:[1,0,0] neg_hi:[1,0,0]
	v_pk_mul_f32 v[62:63], v[32:33], v[14:15] op_sel:[0,1]
	v_pk_mul_f32 v[86:87], v[18:19], v[44:45] op_sel_hi:[1,0]
	v_mov_b32_e32 v51, v37
	v_pk_fma_f32 v[36:37], v[34:35], v[40:41], v[58:59] op_sel:[0,0,1] op_sel_hi:[1,1,0]
	v_pk_fma_f32 v[34:35], v[34:35], v[40:41], v[58:59] op_sel:[0,0,1] op_sel_hi:[1,0,0] neg_lo:[1,0,0] neg_hi:[1,0,0]
	v_pk_mul_f32 v[88:89], v[30:31], v[12:13] op_sel:[0,1]
	v_pk_mul_f32 v[90:91], v[24:25], v[46:47] op_sel:[0,1]
	;; [unrolled: 1-line block ×3, first 2 shown]
	v_mov_b32_e32 v37, v35
	v_pk_fma_f32 v[34:35], v[18:19], v[44:45], v[86:87] op_sel:[1,1,0] op_sel_hi:[0,1,1]
	v_pk_fma_f32 v[18:19], v[18:19], v[44:45], v[86:87] op_sel:[1,1,0] op_sel_hi:[0,1,1] neg_lo:[0,0,1] neg_hi:[0,0,1]
	v_pk_fma_f32 v[44:45], v[32:33], v[14:15], v[62:63] op_sel:[0,0,1] op_sel_hi:[1,1,0]
	v_pk_fma_f32 v[14:15], v[32:33], v[14:15], v[62:63] op_sel:[0,0,1] op_sel_hi:[1,0,0] neg_lo:[1,0,0] neg_hi:[1,0,0]
	v_pk_mul_f32 v[92:93], v[28:29], v[10:11] op_sel:[0,1]
	v_mov_b32_e32 v45, v15
	v_pk_fma_f32 v[32:33], v[24:25], v[46:47], v[90:91] op_sel:[0,0,1] op_sel_hi:[1,1,0]
	v_pk_fma_f32 v[14:15], v[24:25], v[46:47], v[90:91] op_sel:[0,0,1] op_sel_hi:[1,0,0] neg_lo:[1,0,0] neg_hi:[1,0,0]
	v_pk_fma_f32 v[46:47], v[30:31], v[12:13], v[88:89] op_sel:[0,0,1] op_sel_hi:[1,1,0]
	v_pk_fma_f32 v[12:13], v[30:31], v[12:13], v[88:89] op_sel:[0,0,1] op_sel_hi:[1,0,0] neg_lo:[1,0,0] neg_hi:[1,0,0]
	;; [unrolled: 2-line block ×3, first 2 shown]
	v_pk_mul_f32 v[52:53], v[20:21], v[2:3] op_sel_hi:[1,0]
	v_mov_b32_e32 v31, v9
	v_pk_fma_f32 v[26:27], v[28:29], v[10:11], v[92:93] op_sel:[0,0,1] op_sel_hi:[1,1,0]
	v_pk_fma_f32 v[8:9], v[28:29], v[10:11], v[92:93] op_sel:[0,0,1] op_sel_hi:[1,0,0] neg_lo:[1,0,0] neg_hi:[1,0,0]
	v_pk_mul_f32 v[56:57], v[22:23], v[4:5] op_sel:[0,1]
	v_mov_b32_e32 v27, v9
	v_pk_fma_f32 v[8:9], v[20:21], v[2:3], v[52:53] op_sel:[1,1,0] op_sel_hi:[0,1,1]
	v_pk_fma_f32 v[2:3], v[20:21], v[2:3], v[52:53] op_sel:[1,1,0] op_sel_hi:[0,1,1] neg_lo:[0,0,1] neg_hi:[0,0,1]
	v_pk_mul_f32 v[60:61], v[16:17], v[6:7] op_sel:[0,1]
	v_mov_b32_e32 v9, v3
	v_pk_fma_f32 v[28:29], v[22:23], v[4:5], v[56:57] op_sel:[0,0,1] op_sel_hi:[1,1,0]
	v_pk_fma_f32 v[2:3], v[22:23], v[4:5], v[56:57] op_sel:[0,0,1] op_sel_hi:[1,0,0] neg_lo:[1,0,0] neg_hi:[1,0,0]
	v_pk_fma_f32 v[52:53], v[16:17], v[6:7], v[60:61] op_sel:[0,0,1] op_sel_hi:[1,1,0]
	v_mov_b32_e32 v29, v3
	v_pk_fma_f32 v[2:3], v[16:17], v[6:7], v[60:61] op_sel:[0,0,1] op_sel_hi:[1,0,0] neg_lo:[1,0,0] neg_hi:[1,0,0]
	v_pk_add_f32 v[54:55], v[8:9], v[0:1]
	v_mov_b32_e32 v53, v3
	v_pk_add_f32 v[60:61], v[50:51], v[28:29]
	v_pk_add_f32 v[62:63], v[28:29], v[50:51] neg_lo:[0,1] neg_hi:[0,1]
	v_pk_add_f32 v[28:29], v[28:29], v[54:55]
	v_mov_b32_e32 v35, v19
	v_pk_add_f32 v[28:29], v[52:53], v[28:29]
	v_mov_b32_e32 v33, v15
	;; [unrolled: 2-line block ×4, first 2 shown]
	v_pk_add_f32 v[28:29], v[30:31], v[28:29]
	v_pk_add_f32 v[38:39], v[26:27], v[30:31]
	v_pk_add_f32 v[40:41], v[30:31], v[26:27] neg_lo:[0,1] neg_hi:[0,1]
	v_pk_add_f32 v[26:27], v[26:27], v[28:29]
	v_pk_add_f32 v[58:59], v[8:9], v[96:97] neg_lo:[0,1] neg_hi:[0,1]
	v_pk_add_f32 v[26:27], v[46:47], v[26:27]
	s_mov_b32 s0, 0xbeedf032
	v_pk_add_f32 v[26:27], v[44:45], v[26:27]
	v_pk_add_f32 v[56:57], v[96:97], v[8:9]
	s_mov_b32 s10, 0x3f62ad3f
	v_pk_mul_f32 v[4:5], v[58:59], s[0:1] op_sel_hi:[1,0]
	v_pk_add_f32 v[26:27], v[36:37], v[26:27]
	v_pk_fma_f32 v[2:3], v[56:57], s[10:11], v[4:5] op_sel:[0,0,1] op_sel_hi:[1,0,0]
	v_pk_fma_f32 v[4:5], v[56:57], s[10:11], v[4:5] op_sel:[0,0,1] op_sel_hi:[1,0,0] neg_lo:[0,0,1] neg_hi:[0,0,1]
	s_mov_b32 s22, 0xbf52af12
	v_pk_add_f32 v[26:27], v[50:51], v[26:27]
	v_mov_b32_e32 v6, v2
	v_mov_b32_e32 v7, v5
	s_mov_b32 s8, 0x3f116cb1
	v_pk_mul_f32 v[8:9], v[62:63], s[22:23] op_sel_hi:[1,0]
	v_pk_add_f32 v[26:27], v[96:97], v[26:27]
	v_pk_mul_f32 v[28:29], v[58:59], s[22:23] op_sel_hi:[1,0]
	v_pk_add_f32 v[10:11], v[0:1], v[6:7]
	v_pk_fma_f32 v[6:7], v[60:61], s[8:9], v[8:9] op_sel:[0,0,1] op_sel_hi:[1,0,0]
	v_pk_fma_f32 v[8:9], v[60:61], s[8:9], v[8:9] op_sel:[0,0,1] op_sel_hi:[1,0,0] neg_lo:[0,0,1] neg_hi:[0,0,1]
	s_mov_b32 s16, 0xbf6f5d39
	ds_write_b64 v71, v[26:27]
	v_pk_fma_f32 v[26:27], v[56:57], s[8:9], v[28:29] op_sel:[0,0,1] op_sel_hi:[1,0,0]
	v_pk_fma_f32 v[28:29], v[56:57], s[8:9], v[28:29] op_sel:[0,0,1] op_sel_hi:[1,0,0] neg_lo:[0,0,1] neg_hi:[0,0,1]
	v_pk_add_f32 v[88:89], v[52:53], v[36:37] neg_lo:[0,1] neg_hi:[0,1]
	v_pk_add_f32 v[42:43], v[46:47], v[32:33]
	v_pk_add_f32 v[48:49], v[32:33], v[46:47] neg_lo:[0,1] neg_hi:[0,1]
	v_mov_b32_e32 v12, v6
	v_mov_b32_e32 v13, v9
	s_mov_b32 s30, 0xbf7e222b
	s_mov_b32 s14, 0xbeb58ec6
	v_mov_b32_e32 v30, v26
	v_mov_b32_e32 v31, v29
	v_pk_mul_f32 v[32:33], v[62:63], s[16:17] op_sel_hi:[1,0]
	v_pk_add_f32 v[86:87], v[36:37], v[52:53]
	v_pk_add_f32 v[90:91], v[44:45], v[34:35]
	v_pk_add_f32 v[92:93], v[34:35], v[44:45] neg_lo:[0,1] neg_hi:[0,1]
	v_pk_add_f32 v[14:15], v[12:13], v[10:11]
	s_mov_b32 s0, 0x3df6dbef
	v_pk_mul_f32 v[12:13], v[88:89], s[30:31] op_sel_hi:[1,0]
	v_pk_add_f32 v[34:35], v[0:1], v[30:31]
	v_pk_fma_f32 v[30:31], v[60:61], s[14:15], v[32:33] op_sel:[0,0,1] op_sel_hi:[1,0,0]
	v_pk_fma_f32 v[32:33], v[60:61], s[14:15], v[32:33] op_sel:[0,0,1] op_sel_hi:[1,0,0] neg_lo:[0,0,1] neg_hi:[0,0,1]
	v_pk_fma_f32 v[10:11], v[86:87], s[0:1], v[12:13] op_sel:[0,0,1] op_sel_hi:[1,0,0]
	v_pk_fma_f32 v[12:13], v[86:87], s[0:1], v[12:13] op_sel:[0,0,1] op_sel_hi:[1,0,0] neg_lo:[0,0,1] neg_hi:[0,0,1]
	s_mov_b32 s26, 0xbe750f2a
	v_mov_b32_e32 v36, v30
	v_mov_b32_e32 v37, v33
	;; [unrolled: 1-line block ×4, first 2 shown]
	s_mov_b32 s24, 0xbf788fa5
	v_pk_add_f32 v[44:45], v[36:37], v[34:35]
	v_pk_mul_f32 v[36:37], v[88:89], s[26:27] op_sel_hi:[1,0]
	v_pk_add_f32 v[18:19], v[16:17], v[14:15]
	v_pk_mul_f32 v[16:17], v[92:93], s[16:17] op_sel_hi:[1,0]
	v_pk_fma_f32 v[34:35], v[86:87], s[24:25], v[36:37] op_sel:[0,0,1] op_sel_hi:[1,0,0]
	v_pk_fma_f32 v[36:37], v[86:87], s[24:25], v[36:37] op_sel:[0,0,1] op_sel_hi:[1,0,0] neg_lo:[0,0,1] neg_hi:[0,0,1]
	v_pk_fma_f32 v[14:15], v[90:91], s[14:15], v[16:17] op_sel:[0,0,1] op_sel_hi:[1,0,0]
	v_pk_fma_f32 v[16:17], v[90:91], s[14:15], v[16:17] op_sel:[0,0,1] op_sel_hi:[1,0,0] neg_lo:[0,0,1] neg_hi:[0,0,1]
	v_mov_b32_e32 v46, v34
	v_mov_b32_e32 v47, v37
	s_mov_b32 s36, 0x3f29c268
	v_mov_b32_e32 v20, v14
	v_mov_b32_e32 v21, v17
	s_mov_b32 s18, 0xbf3f9e67
	s_mov_b32 s20, 0xbf29c268
	v_pk_add_f32 v[50:51], v[46:47], v[44:45]
	v_pk_mul_f32 v[46:47], v[92:93], s[36:37] op_sel_hi:[1,0]
	v_pk_add_f32 v[22:23], v[20:21], v[18:19]
	v_pk_mul_f32 v[20:21], v[48:49], s[20:21] op_sel_hi:[1,0]
	v_pk_fma_f32 v[44:45], v[90:91], s[18:19], v[46:47] op_sel:[0,0,1] op_sel_hi:[1,0,0]
	v_pk_fma_f32 v[46:47], v[90:91], s[18:19], v[46:47] op_sel:[0,0,1] op_sel_hi:[1,0,0] neg_lo:[0,0,1] neg_hi:[0,0,1]
	v_pk_fma_f32 v[18:19], v[42:43], s[18:19], v[20:21] op_sel:[0,0,1] op_sel_hi:[1,0,0]
	v_pk_fma_f32 v[20:21], v[42:43], s[18:19], v[20:21] op_sel:[0,0,1] op_sel_hi:[1,0,0] neg_lo:[0,0,1] neg_hi:[0,0,1]
	v_mov_b32_e32 v52, v44
	v_mov_b32_e32 v53, v47
	s_mov_b32 s28, 0x3f7e222b
	v_mov_b32_e32 v24, v18
	v_mov_b32_e32 v25, v21
	v_pk_add_f32 v[50:51], v[52:53], v[50:51]
	v_pk_mul_f32 v[52:53], v[48:49], s[28:29] op_sel_hi:[1,0]
	v_pk_add_f32 v[94:95], v[24:25], v[22:23]
	v_pk_mul_f32 v[24:25], v[40:41], s[26:27] op_sel_hi:[1,0]
	v_pk_fma_f32 v[54:55], v[42:43], s[0:1], v[52:53] op_sel:[0,0,1] op_sel_hi:[1,0,0]
	v_pk_fma_f32 v[52:53], v[42:43], s[0:1], v[52:53] op_sel:[0,0,1] op_sel_hi:[1,0,0] neg_lo:[0,0,1] neg_hi:[0,0,1]
	v_pk_fma_f32 v[22:23], v[38:39], s[24:25], v[24:25] op_sel:[0,0,1] op_sel_hi:[1,0,0]
	v_pk_fma_f32 v[24:25], v[38:39], s[24:25], v[24:25] op_sel:[0,0,1] op_sel_hi:[1,0,0] neg_lo:[0,0,1] neg_hi:[0,0,1]
	v_mov_b32_e32 v96, v54
	v_mov_b32_e32 v97, v53
	s_mov_b32 s34, 0x3eedf032
	v_mov_b32_e32 v98, v22
	v_mov_b32_e32 v99, v25
	v_pk_add_f32 v[50:51], v[96:97], v[50:51]
	v_pk_mul_f32 v[96:97], v[40:41], s[34:35] op_sel_hi:[1,0]
	v_pk_add_f32 v[94:95], v[98:99], v[94:95]
	v_pk_fma_f32 v[98:99], v[38:39], s[10:11], v[96:97] op_sel:[0,0,1] op_sel_hi:[1,0,0]
	v_pk_fma_f32 v[96:97], v[38:39], s[10:11], v[96:97] op_sel:[0,0,1] op_sel_hi:[1,0,0] neg_lo:[0,0,1] neg_hi:[0,0,1]
	v_mov_b32_e32 v100, v98
	v_mov_b32_e32 v101, v97
	v_lshl_add_u32 v174, v208, 3, v209
	v_pk_add_f32 v[50:51], v[100:101], v[50:51]
	ds_write2_b64 v174, v[94:95], v[50:51] offset0:50 offset1:100
	v_pk_mul_f32 v[50:51], v[58:59], s[30:31] op_sel_hi:[1,0]
	v_pk_mul_f32 v[102:103], v[62:63], s[26:27] op_sel_hi:[1,0]
	v_pk_fma_f32 v[94:95], v[56:57], s[0:1], v[50:51] op_sel:[0,0,1] op_sel_hi:[1,0,0]
	v_pk_fma_f32 v[50:51], v[56:57], s[0:1], v[50:51] op_sel:[0,0,1] op_sel_hi:[1,0,0] neg_lo:[0,0,1] neg_hi:[0,0,1]
	v_mov_b32_e32 v100, v94
	v_mov_b32_e32 v101, v51
	v_pk_fma_f32 v[104:105], v[60:61], s[24:25], v[102:103] op_sel:[0,0,1] op_sel_hi:[1,0,0]
	v_pk_fma_f32 v[102:103], v[60:61], s[24:25], v[102:103] op_sel:[0,0,1] op_sel_hi:[1,0,0] neg_lo:[0,0,1] neg_hi:[0,0,1]
	v_pk_add_f32 v[100:101], v[0:1], v[100:101]
	v_mov_b32_e32 v106, v104
	v_mov_b32_e32 v107, v103
	s_mov_b32 s38, 0x3f6f5d39
	v_pk_add_f32 v[100:101], v[106:107], v[100:101]
	v_pk_mul_f32 v[106:107], v[88:89], s[38:39] op_sel_hi:[1,0]
	v_pk_mul_f32 v[128:129], v[62:63], s[36:37] op_sel_hi:[1,0]
	v_pk_fma_f32 v[108:109], v[86:87], s[14:15], v[106:107] op_sel:[0,0,1] op_sel_hi:[1,0,0]
	v_pk_fma_f32 v[106:107], v[86:87], s[14:15], v[106:107] op_sel:[0,0,1] op_sel_hi:[1,0,0] neg_lo:[0,0,1] neg_hi:[0,0,1]
	v_mov_b32_e32 v110, v108
	v_mov_b32_e32 v111, v107
	v_pk_add_f32 v[100:101], v[110:111], v[100:101]
	v_pk_mul_f32 v[110:111], v[92:93], s[34:35] op_sel_hi:[1,0]
	v_pk_fma_f32 v[130:131], v[60:61], s[18:19], v[128:129] op_sel:[0,0,1] op_sel_hi:[1,0,0]
	v_pk_fma_f32 v[112:113], v[90:91], s[10:11], v[110:111] op_sel:[0,0,1] op_sel_hi:[1,0,0]
	v_pk_fma_f32 v[110:111], v[90:91], s[10:11], v[110:111] op_sel:[0,0,1] op_sel_hi:[1,0,0] neg_lo:[0,0,1] neg_hi:[0,0,1]
	v_mov_b32_e32 v114, v112
	v_mov_b32_e32 v115, v111
	v_pk_add_f32 v[100:101], v[114:115], v[100:101]
	v_pk_mul_f32 v[114:115], v[48:49], s[22:23] op_sel_hi:[1,0]
	v_pk_fma_f32 v[128:129], v[60:61], s[18:19], v[128:129] op_sel:[0,0,1] op_sel_hi:[1,0,0] neg_lo:[0,0,1] neg_hi:[0,0,1]
	v_pk_fma_f32 v[116:117], v[42:43], s[8:9], v[114:115] op_sel:[0,0,1] op_sel_hi:[1,0,0]
	v_pk_fma_f32 v[114:115], v[42:43], s[8:9], v[114:115] op_sel:[0,0,1] op_sel_hi:[1,0,0] neg_lo:[0,0,1] neg_hi:[0,0,1]
	v_mov_b32_e32 v118, v116
	v_mov_b32_e32 v119, v115
	v_pk_add_f32 v[100:101], v[118:119], v[100:101]
	v_pk_mul_f32 v[118:119], v[40:41], s[20:21] op_sel_hi:[1,0]
	v_mov_b32_e32 v132, v130
	v_pk_fma_f32 v[120:121], v[38:39], s[18:19], v[118:119] op_sel:[0,0,1] op_sel_hi:[1,0,0]
	v_pk_fma_f32 v[118:119], v[38:39], s[18:19], v[118:119] op_sel:[0,0,1] op_sel_hi:[1,0,0] neg_lo:[0,0,1] neg_hi:[0,0,1]
	v_mov_b32_e32 v122, v120
	v_mov_b32_e32 v123, v119
	v_pk_add_f32 v[100:101], v[122:123], v[100:101]
	v_pk_mul_f32 v[122:123], v[58:59], s[16:17] op_sel_hi:[1,0]
	v_mov_b32_e32 v133, v129
	v_pk_fma_f32 v[124:125], v[56:57], s[14:15], v[122:123] op_sel:[0,0,1] op_sel_hi:[1,0,0]
	v_pk_fma_f32 v[122:123], v[56:57], s[14:15], v[122:123] op_sel:[0,0,1] op_sel_hi:[1,0,0] neg_lo:[0,0,1] neg_hi:[0,0,1]
	v_mov_b32_e32 v126, v124
	v_mov_b32_e32 v127, v123
	v_pk_add_f32 v[126:127], v[0:1], v[126:127]
	s_mov_b32 s36, 0x3f52af12
	v_pk_add_f32 v[126:127], v[132:133], v[126:127]
	v_pk_mul_f32 v[132:133], v[88:89], s[34:35] op_sel_hi:[1,0]
	v_pk_mul_f32 v[150:151], v[62:63], s[28:29] op_sel_hi:[1,0]
	v_pk_fma_f32 v[134:135], v[86:87], s[10:11], v[132:133] op_sel:[0,0,1] op_sel_hi:[1,0,0]
	v_pk_fma_f32 v[132:133], v[86:87], s[10:11], v[132:133] op_sel:[0,0,1] op_sel_hi:[1,0,0] neg_lo:[0,0,1] neg_hi:[0,0,1]
	v_mov_b32_e32 v136, v134
	v_mov_b32_e32 v137, v133
	v_pk_add_f32 v[126:127], v[136:137], v[126:127]
	v_pk_mul_f32 v[136:137], v[92:93], s[30:31] op_sel_hi:[1,0]
	s_mov_b32 s30, 0x3e750f2a
	v_pk_fma_f32 v[138:139], v[90:91], s[0:1], v[136:137] op_sel:[0,0,1] op_sel_hi:[1,0,0]
	v_pk_fma_f32 v[136:137], v[90:91], s[0:1], v[136:137] op_sel:[0,0,1] op_sel_hi:[1,0,0] neg_lo:[0,0,1] neg_hi:[0,0,1]
	v_mov_b32_e32 v140, v138
	v_mov_b32_e32 v141, v137
	v_pk_add_f32 v[126:127], v[140:141], v[126:127]
	v_pk_mul_f32 v[140:141], v[48:49], s[30:31] op_sel_hi:[1,0]
	v_pk_fma_f32 v[152:153], v[60:61], s[0:1], v[150:151] op_sel:[0,0,1] op_sel_hi:[1,0,0]
	v_pk_fma_f32 v[142:143], v[42:43], s[24:25], v[140:141] op_sel:[0,0,1] op_sel_hi:[1,0,0]
	v_pk_fma_f32 v[140:141], v[42:43], s[24:25], v[140:141] op_sel:[0,0,1] op_sel_hi:[1,0,0] neg_lo:[0,0,1] neg_hi:[0,0,1]
	v_mov_b32_e32 v144, v142
	v_mov_b32_e32 v145, v141
	v_pk_add_f32 v[126:127], v[144:145], v[126:127]
	v_pk_mul_f32 v[144:145], v[40:41], s[36:37] op_sel_hi:[1,0]
	v_pk_fma_f32 v[150:151], v[60:61], s[0:1], v[150:151] op_sel:[0,0,1] op_sel_hi:[1,0,0] neg_lo:[0,0,1] neg_hi:[0,0,1]
	v_pk_fma_f32 v[146:147], v[38:39], s[8:9], v[144:145] op_sel:[0,0,1] op_sel_hi:[1,0,0]
	v_pk_fma_f32 v[144:145], v[38:39], s[8:9], v[144:145] op_sel:[0,0,1] op_sel_hi:[1,0,0] neg_lo:[0,0,1] neg_hi:[0,0,1]
	v_mov_b32_e32 v148, v146
	v_mov_b32_e32 v149, v145
	v_pk_add_f32 v[126:127], v[148:149], v[126:127]
	ds_write2_b64 v174, v[100:101], v[126:127] offset0:150 offset1:200
	v_pk_mul_f32 v[100:101], v[58:59], s[20:21] op_sel_hi:[1,0]
	v_mov_b32_e32 v154, v152
	v_pk_fma_f32 v[126:127], v[56:57], s[18:19], v[100:101] op_sel:[0,0,1] op_sel_hi:[1,0,0]
	v_pk_fma_f32 v[100:101], v[56:57], s[18:19], v[100:101] op_sel:[0,0,1] op_sel_hi:[1,0,0] neg_lo:[0,0,1] neg_hi:[0,0,1]
	v_mov_b32_e32 v148, v126
	v_mov_b32_e32 v149, v101
	v_pk_add_f32 v[148:149], v[0:1], v[148:149]
	v_mov_b32_e32 v155, v151
	v_pk_add_f32 v[148:149], v[154:155], v[148:149]
	v_pk_mul_f32 v[154:155], v[88:89], s[22:23] op_sel_hi:[1,0]
	v_pk_mul_f32 v[58:59], v[58:59], s[26:27] op_sel_hi:[1,0]
	v_pk_fma_f32 v[156:157], v[86:87], s[8:9], v[154:155] op_sel:[0,0,1] op_sel_hi:[1,0,0]
	v_pk_fma_f32 v[154:155], v[86:87], s[8:9], v[154:155] op_sel:[0,0,1] op_sel_hi:[1,0,0] neg_lo:[0,0,1] neg_hi:[0,0,1]
	v_mov_b32_e32 v158, v156
	v_mov_b32_e32 v159, v155
	v_pk_add_f32 v[148:149], v[158:159], v[148:149]
	v_pk_mul_f32 v[158:159], v[92:93], s[30:31] op_sel_hi:[1,0]
	v_pk_mul_f32 v[62:63], v[62:63], s[34:35] op_sel_hi:[1,0]
	v_pk_fma_f32 v[160:161], v[90:91], s[24:25], v[158:159] op_sel:[0,0,1] op_sel_hi:[1,0,0]
	v_pk_fma_f32 v[158:159], v[90:91], s[24:25], v[158:159] op_sel:[0,0,1] op_sel_hi:[1,0,0] neg_lo:[0,0,1] neg_hi:[0,0,1]
	v_mov_b32_e32 v162, v160
	v_mov_b32_e32 v163, v159
	v_pk_add_f32 v[148:149], v[162:163], v[148:149]
	v_pk_mul_f32 v[162:163], v[48:49], s[34:35] op_sel_hi:[1,0]
	v_pk_fma_f32 v[172:173], v[60:61], s[10:11], v[62:63] op_sel:[0,0,1] op_sel_hi:[1,0,0]
	v_pk_fma_f32 v[164:165], v[42:43], s[10:11], v[162:163] op_sel:[0,0,1] op_sel_hi:[1,0,0]
	v_pk_fma_f32 v[162:163], v[42:43], s[10:11], v[162:163] op_sel:[0,0,1] op_sel_hi:[1,0,0] neg_lo:[0,0,1] neg_hi:[0,0,1]
	v_mov_b32_e32 v166, v164
	v_mov_b32_e32 v167, v163
	v_pk_add_f32 v[148:149], v[166:167], v[148:149]
	v_pk_mul_f32 v[166:167], v[40:41], s[16:17] op_sel_hi:[1,0]
	v_pk_fma_f32 v[60:61], v[60:61], s[10:11], v[62:63] op_sel:[0,0,1] op_sel_hi:[1,0,0] neg_lo:[0,0,1] neg_hi:[0,0,1]
	v_pk_fma_f32 v[168:169], v[38:39], s[14:15], v[166:167] op_sel:[0,0,1] op_sel_hi:[1,0,0]
	v_pk_fma_f32 v[166:167], v[38:39], s[14:15], v[166:167] op_sel:[0,0,1] op_sel_hi:[1,0,0] neg_lo:[0,0,1] neg_hi:[0,0,1]
	v_mov_b32_e32 v170, v168
	v_mov_b32_e32 v171, v167
	v_pk_add_f32 v[148:149], v[170:171], v[148:149]
	v_pk_fma_f32 v[170:171], v[56:57], s[24:25], v[58:59] op_sel:[0,0,1] op_sel_hi:[1,0,0]
	v_pk_fma_f32 v[56:57], v[56:57], s[24:25], v[58:59] op_sel:[0,0,1] op_sel_hi:[1,0,0] neg_lo:[0,0,1] neg_hi:[0,0,1]
	v_mov_b32_e32 v58, v170
	v_mov_b32_e32 v59, v57
	v_pk_add_f32 v[58:59], v[0:1], v[58:59]
	v_mov_b32_e32 v62, v172
	v_mov_b32_e32 v63, v61
	v_pk_add_f32 v[58:59], v[62:63], v[58:59]
	v_pk_mul_f32 v[62:63], v[88:89], s[20:21] op_sel_hi:[1,0]
	v_pk_mul_f32 v[48:49], v[48:49], s[16:17] op_sel_hi:[1,0]
	v_pk_fma_f32 v[88:89], v[86:87], s[18:19], v[62:63] op_sel:[0,0,1] op_sel_hi:[1,0,0]
	v_pk_fma_f32 v[62:63], v[86:87], s[18:19], v[62:63] op_sel:[0,0,1] op_sel_hi:[1,0,0] neg_lo:[0,0,1] neg_hi:[0,0,1]
	v_mov_b32_e32 v86, v88
	v_mov_b32_e32 v87, v63
	v_pk_add_f32 v[58:59], v[86:87], v[58:59]
	v_pk_mul_f32 v[86:87], v[92:93], s[36:37] op_sel_hi:[1,0]
	v_pk_mul_f32 v[40:41], v[40:41], s[28:29] op_sel_hi:[1,0]
	v_pk_fma_f32 v[92:93], v[90:91], s[8:9], v[86:87] op_sel:[0,0,1] op_sel_hi:[1,0,0]
	v_pk_fma_f32 v[86:87], v[90:91], s[8:9], v[86:87] op_sel:[0,0,1] op_sel_hi:[1,0,0] neg_lo:[0,0,1] neg_hi:[0,0,1]
	v_mov_b32_e32 v90, v92
	v_mov_b32_e32 v91, v87
	v_pk_add_f32 v[58:59], v[90:91], v[58:59]
	v_pk_fma_f32 v[90:91], v[42:43], s[14:15], v[48:49] op_sel:[0,0,1] op_sel_hi:[1,0,0]
	v_pk_fma_f32 v[42:43], v[42:43], s[14:15], v[48:49] op_sel:[0,0,1] op_sel_hi:[1,0,0] neg_lo:[0,0,1] neg_hi:[0,0,1]
	v_mov_b32_e32 v48, v90
	v_mov_b32_e32 v49, v43
	v_pk_add_f32 v[48:49], v[48:49], v[58:59]
	;; [unrolled: 5-line block ×3, first 2 shown]
	v_add_u32_e32 v2, 0x400, v174
	v_mov_b32_e32 v57, v171
	ds_write2_b64 v2, v[148:149], v[40:41] offset0:122 offset1:172
	v_pk_add_f32 v[40:41], v[0:1], v[56:57]
	v_mov_b32_e32 v61, v173
	v_pk_add_f32 v[40:41], v[60:61], v[40:41]
	v_mov_b32_e32 v63, v89
	;; [unrolled: 2-line block ×5, first 2 shown]
	v_mov_b32_e32 v101, v127
	v_pk_add_f32 v[38:39], v[38:39], v[40:41]
	v_pk_add_f32 v[40:41], v[0:1], v[100:101]
	v_mov_b32_e32 v151, v153
	v_pk_add_f32 v[40:41], v[150:151], v[40:41]
	v_mov_b32_e32 v155, v157
	;; [unrolled: 2-line block ×5, first 2 shown]
	v_pk_add_f32 v[40:41], v[166:167], v[40:41]
	v_add_u32_e32 v2, 0x800, v174
	v_mov_b32_e32 v123, v125
	v_mov_b32_e32 v51, v95
	ds_write2_b64 v2, v[38:39], v[40:41] offset0:94 offset1:144
	v_pk_add_f32 v[38:39], v[0:1], v[122:123]
	v_mov_b32_e32 v129, v131
	v_pk_add_f32 v[40:41], v[0:1], v[50:51]
	v_mov_b32_e32 v103, v105
	v_mov_b32_e32 v29, v27
	;; [unrolled: 1-line block ×3, first 2 shown]
	v_pk_add_f32 v[38:39], v[128:129], v[38:39]
	v_mov_b32_e32 v133, v135
	v_pk_add_f32 v[40:41], v[102:103], v[40:41]
	v_mov_b32_e32 v107, v109
	;; [unrolled: 2-line block ×16, first 2 shown]
	v_pk_add_f32 v[38:39], v[144:145], v[38:39]
	v_pk_add_f32 v[40:41], v[118:119], v[40:41]
	;; [unrolled: 1-line block ×3, first 2 shown]
	v_mov_b32_e32 v97, v99
	v_pk_add_f32 v[0:1], v[20:21], v[0:1]
	v_mov_b32_e32 v25, v23
	ds_write2_b64 v2, v[38:39], v[40:41] offset0:194 offset1:244
	v_pk_add_f32 v[26:27], v[96:97], v[26:27]
	v_pk_add_f32 v[0:1], v[24:25], v[0:1]
	v_add_u32_e32 v2, 0x1000, v174
	ds_write2_b64 v2, v[26:27], v[0:1] offset0:38 offset1:88
.LBB0_9:
	s_or_b64 exec, exec, s[2:3]
	s_waitcnt lgkmcnt(0)
	s_barrier
	ds_read2_b64 v[0:3], v71 offset1:65
	v_mad_u64_u32 v[6:7], s[0:1], s6, v70, 0
	v_mov_b32_e32 v8, v7
	v_mad_u64_u32 v[8:9], s[0:1], s7, v70, v[8:9]
	v_mov_b32_e32 v7, v8
	s_waitcnt lgkmcnt(0)
	v_mul_f32_e32 v8, v85, v1
	v_fmac_f32_e32 v8, v84, v0
	v_mul_f32_e32 v0, v85, v0
	s_mov_b32 s0, 0x7f9b2ce6
	v_fma_f32 v0, v84, v1, -v0
	v_cvt_f64_f32_e32 v[8:9], v8
	s_mov_b32 s1, 0x3f5934c6
	v_cvt_f64_f32_e32 v[0:1], v0
	v_mul_f64 v[8:9], v[8:9], s[0:1]
	v_mul_f64 v[0:1], v[0:1], s[0:1]
	v_cvt_f32_f64_e32 v8, v[8:9]
	v_cvt_f32_f64_e32 v9, v[0:1]
	v_mad_u64_u32 v[0:1], s[2:3], s4, v208, 0
	v_mov_b32_e32 v10, v1
	v_mov_b32_e32 v4, s12
	;; [unrolled: 1-line block ×3, first 2 shown]
	v_mad_u64_u32 v[10:11], s[2:3], s5, v208, v[10:11]
	v_mov_b32_e32 v1, v10
	v_lshl_add_u64 v[4:5], v[6:7], 3, v[4:5]
	v_lshl_add_u64 v[4:5], v[0:1], 3, v[4:5]
	v_mul_f32_e32 v0, v83, v3
	v_fmac_f32_e32 v0, v82, v2
	v_cvt_f64_f32_e32 v[0:1], v0
	v_mul_f64 v[0:1], v[0:1], s[0:1]
	v_cvt_f32_f64_e32 v6, v[0:1]
	v_mul_f32_e32 v0, v83, v2
	v_fma_f32 v0, v82, v3, -v0
	v_cvt_f64_f32_e32 v[0:1], v0
	v_mul_f64 v[0:1], v[0:1], s[0:1]
	v_cvt_f32_f64_e32 v7, v[0:1]
	ds_read2_b64 v[0:3], v71 offset0:130 offset1:195
	global_store_dwordx2 v[4:5], v[8:9], off
	v_mov_b32_e32 v8, 0x208
	v_mad_u64_u32 v[4:5], s[2:3], s4, v8, v[4:5]
	s_mulk_i32 s5, 0x208
	v_add_u32_e32 v5, s5, v5
	global_store_dwordx2 v[4:5], v[6:7], off
	s_waitcnt lgkmcnt(0)
	v_mul_f32_e32 v6, v77, v1
	v_fmac_f32_e32 v6, v76, v0
	v_mul_f32_e32 v0, v77, v0
	v_fma_f32 v0, v76, v1, -v0
	v_cvt_f64_f32_e32 v[6:7], v6
	v_cvt_f64_f32_e32 v[0:1], v0
	v_mul_f64 v[6:7], v[6:7], s[0:1]
	v_mul_f64 v[0:1], v[0:1], s[0:1]
	v_cvt_f32_f64_e32 v6, v[6:7]
	v_cvt_f32_f64_e32 v7, v[0:1]
	v_mul_f32_e32 v0, v75, v3
	v_fmac_f32_e32 v0, v74, v2
	v_mad_u64_u32 v[4:5], s[2:3], s4, v8, v[4:5]
	v_cvt_f64_f32_e32 v[0:1], v0
	v_add_u32_e32 v5, s5, v5
	v_mul_f64 v[0:1], v[0:1], s[0:1]
	global_store_dwordx2 v[4:5], v[6:7], off
	v_cvt_f32_f64_e32 v6, v[0:1]
	v_mul_f32_e32 v0, v75, v2
	v_fma_f32 v0, v74, v3, -v0
	v_cvt_f64_f32_e32 v[0:1], v0
	v_mul_f64 v[0:1], v[0:1], s[0:1]
	v_add_u32_e32 v9, 0x800, v71
	v_cvt_f32_f64_e32 v7, v[0:1]
	ds_read2_b64 v[0:3], v9 offset0:4 offset1:69
	v_mad_u64_u32 v[4:5], s[2:3], s4, v8, v[4:5]
	v_add_u32_e32 v5, s5, v5
	global_store_dwordx2 v[4:5], v[6:7], off
	s_waitcnt lgkmcnt(0)
	v_mul_f32_e32 v6, v81, v1
	v_fmac_f32_e32 v6, v80, v0
	v_mul_f32_e32 v0, v81, v0
	v_fma_f32 v0, v80, v1, -v0
	v_cvt_f64_f32_e32 v[6:7], v6
	v_cvt_f64_f32_e32 v[0:1], v0
	v_mul_f64 v[6:7], v[6:7], s[0:1]
	v_mul_f64 v[0:1], v[0:1], s[0:1]
	v_cvt_f32_f64_e32 v6, v[6:7]
	v_cvt_f32_f64_e32 v7, v[0:1]
	v_mul_f32_e32 v0, v79, v3
	v_fmac_f32_e32 v0, v78, v2
	v_mad_u64_u32 v[4:5], s[2:3], s4, v8, v[4:5]
	v_cvt_f64_f32_e32 v[0:1], v0
	v_add_u32_e32 v5, s5, v5
	v_mul_f64 v[0:1], v[0:1], s[0:1]
	global_store_dwordx2 v[4:5], v[6:7], off
	v_cvt_f32_f64_e32 v6, v[0:1]
	v_mul_f32_e32 v0, v79, v2
	v_fma_f32 v0, v78, v3, -v0
	v_cvt_f64_f32_e32 v[0:1], v0
	v_mul_f64 v[0:1], v[0:1], s[0:1]
	v_cvt_f32_f64_e32 v7, v[0:1]
	ds_read2_b64 v[0:3], v9 offset0:134 offset1:199
	v_mad_u64_u32 v[4:5], s[2:3], s4, v8, v[4:5]
	v_add_u32_e32 v5, s5, v5
	global_store_dwordx2 v[4:5], v[6:7], off
	s_waitcnt lgkmcnt(0)
	v_mul_f32_e32 v6, v73, v1
	v_fmac_f32_e32 v6, v72, v0
	v_mul_f32_e32 v0, v73, v0
	v_fma_f32 v0, v72, v1, -v0
	v_cvt_f64_f32_e32 v[6:7], v6
	v_cvt_f64_f32_e32 v[0:1], v0
	v_mul_f64 v[6:7], v[6:7], s[0:1]
	v_mul_f64 v[0:1], v[0:1], s[0:1]
	v_cvt_f32_f64_e32 v6, v[6:7]
	v_cvt_f32_f64_e32 v7, v[0:1]
	v_mul_f32_e32 v0, v69, v3
	v_fmac_f32_e32 v0, v68, v2
	v_mad_u64_u32 v[4:5], s[2:3], s4, v8, v[4:5]
	v_cvt_f64_f32_e32 v[0:1], v0
	v_add_u32_e32 v5, s5, v5
	v_mul_f64 v[0:1], v[0:1], s[0:1]
	global_store_dwordx2 v[4:5], v[6:7], off
	v_cvt_f32_f64_e32 v6, v[0:1]
	v_mul_f32_e32 v0, v69, v2
	v_fma_f32 v0, v68, v3, -v0
	v_cvt_f64_f32_e32 v[0:1], v0
	v_mul_f64 v[0:1], v[0:1], s[0:1]
	v_cvt_f32_f64_e32 v7, v[0:1]
	v_add_u32_e32 v0, 0x1000, v71
	ds_read2_b64 v[0:3], v0 offset0:8 offset1:73
	v_mad_u64_u32 v[4:5], s[2:3], s4, v8, v[4:5]
	v_add_u32_e32 v5, s5, v5
	global_store_dwordx2 v[4:5], v[6:7], off
	s_waitcnt lgkmcnt(0)
	v_mul_f32_e32 v6, v67, v1
	v_fmac_f32_e32 v6, v66, v0
	v_mul_f32_e32 v0, v67, v0
	v_fma_f32 v0, v66, v1, -v0
	v_cvt_f64_f32_e32 v[6:7], v6
	v_cvt_f64_f32_e32 v[0:1], v0
	v_mul_f64 v[6:7], v[6:7], s[0:1]
	v_mul_f64 v[0:1], v[0:1], s[0:1]
	v_cvt_f32_f64_e32 v6, v[6:7]
	v_cvt_f32_f64_e32 v7, v[0:1]
	v_mad_u64_u32 v[0:1], s[2:3], s4, v8, v[4:5]
	v_mul_f32_e32 v4, v65, v3
	v_fmac_f32_e32 v4, v64, v2
	v_mul_f32_e32 v2, v65, v2
	v_fma_f32 v2, v64, v3, -v2
	v_add_u32_e32 v1, s5, v1
	v_cvt_f64_f32_e32 v[4:5], v4
	v_cvt_f64_f32_e32 v[2:3], v2
	global_store_dwordx2 v[0:1], v[6:7], off
	v_mul_f64 v[4:5], v[4:5], s[0:1]
	v_mul_f64 v[2:3], v[2:3], s[0:1]
	v_mad_u64_u32 v[0:1], s[0:1], s4, v8, v[0:1]
	v_cvt_f32_f64_e32 v4, v[4:5]
	v_cvt_f32_f64_e32 v5, v[2:3]
	v_add_u32_e32 v1, s5, v1
	global_store_dwordx2 v[0:1], v[4:5], off
.LBB0_10:
	s_endpgm
	.section	.rodata,"a",@progbits
	.p2align	6, 0x0
	.amdhsa_kernel bluestein_single_fwd_len650_dim1_sp_op_CI_CI
		.amdhsa_group_segment_fixed_size 15600
		.amdhsa_private_segment_fixed_size 0
		.amdhsa_kernarg_size 104
		.amdhsa_user_sgpr_count 2
		.amdhsa_user_sgpr_dispatch_ptr 0
		.amdhsa_user_sgpr_queue_ptr 0
		.amdhsa_user_sgpr_kernarg_segment_ptr 1
		.amdhsa_user_sgpr_dispatch_id 0
		.amdhsa_user_sgpr_kernarg_preload_length 0
		.amdhsa_user_sgpr_kernarg_preload_offset 0
		.amdhsa_user_sgpr_private_segment_size 0
		.amdhsa_uses_dynamic_stack 0
		.amdhsa_enable_private_segment 0
		.amdhsa_system_sgpr_workgroup_id_x 1
		.amdhsa_system_sgpr_workgroup_id_y 0
		.amdhsa_system_sgpr_workgroup_id_z 0
		.amdhsa_system_sgpr_workgroup_info 0
		.amdhsa_system_vgpr_workitem_id 0
		.amdhsa_next_free_vgpr 216
		.amdhsa_next_free_sgpr 42
		.amdhsa_accum_offset 216
		.amdhsa_reserve_vcc 1
		.amdhsa_float_round_mode_32 0
		.amdhsa_float_round_mode_16_64 0
		.amdhsa_float_denorm_mode_32 3
		.amdhsa_float_denorm_mode_16_64 3
		.amdhsa_dx10_clamp 1
		.amdhsa_ieee_mode 1
		.amdhsa_fp16_overflow 0
		.amdhsa_tg_split 0
		.amdhsa_exception_fp_ieee_invalid_op 0
		.amdhsa_exception_fp_denorm_src 0
		.amdhsa_exception_fp_ieee_div_zero 0
		.amdhsa_exception_fp_ieee_overflow 0
		.amdhsa_exception_fp_ieee_underflow 0
		.amdhsa_exception_fp_ieee_inexact 0
		.amdhsa_exception_int_div_zero 0
	.end_amdhsa_kernel
	.text
.Lfunc_end0:
	.size	bluestein_single_fwd_len650_dim1_sp_op_CI_CI, .Lfunc_end0-bluestein_single_fwd_len650_dim1_sp_op_CI_CI
                                        ; -- End function
	.section	.AMDGPU.csdata,"",@progbits
; Kernel info:
; codeLenInByte = 11764
; NumSgprs: 48
; NumVgprs: 216
; NumAgprs: 0
; TotalNumVgprs: 216
; ScratchSize: 0
; MemoryBound: 0
; FloatMode: 240
; IeeeMode: 1
; LDSByteSize: 15600 bytes/workgroup (compile time only)
; SGPRBlocks: 5
; VGPRBlocks: 26
; NumSGPRsForWavesPerEU: 48
; NumVGPRsForWavesPerEU: 216
; AccumOffset: 216
; Occupancy: 2
; WaveLimiterHint : 1
; COMPUTE_PGM_RSRC2:SCRATCH_EN: 0
; COMPUTE_PGM_RSRC2:USER_SGPR: 2
; COMPUTE_PGM_RSRC2:TRAP_HANDLER: 0
; COMPUTE_PGM_RSRC2:TGID_X_EN: 1
; COMPUTE_PGM_RSRC2:TGID_Y_EN: 0
; COMPUTE_PGM_RSRC2:TGID_Z_EN: 0
; COMPUTE_PGM_RSRC2:TIDIG_COMP_CNT: 0
; COMPUTE_PGM_RSRC3_GFX90A:ACCUM_OFFSET: 53
; COMPUTE_PGM_RSRC3_GFX90A:TG_SPLIT: 0
	.text
	.p2alignl 6, 3212836864
	.fill 256, 4, 3212836864
	.type	__hip_cuid_e28f59d7be31b0fb,@object ; @__hip_cuid_e28f59d7be31b0fb
	.section	.bss,"aw",@nobits
	.globl	__hip_cuid_e28f59d7be31b0fb
__hip_cuid_e28f59d7be31b0fb:
	.byte	0                               ; 0x0
	.size	__hip_cuid_e28f59d7be31b0fb, 1

	.ident	"AMD clang version 19.0.0git (https://github.com/RadeonOpenCompute/llvm-project roc-6.4.0 25133 c7fe45cf4b819c5991fe208aaa96edf142730f1d)"
	.section	".note.GNU-stack","",@progbits
	.addrsig
	.addrsig_sym __hip_cuid_e28f59d7be31b0fb
	.amdgpu_metadata
---
amdhsa.kernels:
  - .agpr_count:     0
    .args:
      - .actual_access:  read_only
        .address_space:  global
        .offset:         0
        .size:           8
        .value_kind:     global_buffer
      - .actual_access:  read_only
        .address_space:  global
        .offset:         8
        .size:           8
        .value_kind:     global_buffer
      - .actual_access:  read_only
        .address_space:  global
        .offset:         16
        .size:           8
        .value_kind:     global_buffer
      - .actual_access:  read_only
        .address_space:  global
        .offset:         24
        .size:           8
        .value_kind:     global_buffer
      - .actual_access:  read_only
        .address_space:  global
        .offset:         32
        .size:           8
        .value_kind:     global_buffer
      - .offset:         40
        .size:           8
        .value_kind:     by_value
      - .address_space:  global
        .offset:         48
        .size:           8
        .value_kind:     global_buffer
      - .address_space:  global
        .offset:         56
        .size:           8
        .value_kind:     global_buffer
      - .address_space:  global
        .offset:         64
        .size:           8
        .value_kind:     global_buffer
      - .address_space:  global
        .offset:         72
        .size:           8
        .value_kind:     global_buffer
      - .offset:         80
        .size:           4
        .value_kind:     by_value
      - .address_space:  global
        .offset:         88
        .size:           8
        .value_kind:     global_buffer
      - .address_space:  global
        .offset:         96
        .size:           8
        .value_kind:     global_buffer
    .group_segment_fixed_size: 15600
    .kernarg_segment_align: 8
    .kernarg_segment_size: 104
    .language:       OpenCL C
    .language_version:
      - 2
      - 0
    .max_flat_workgroup_size: 195
    .name:           bluestein_single_fwd_len650_dim1_sp_op_CI_CI
    .private_segment_fixed_size: 0
    .sgpr_count:     48
    .sgpr_spill_count: 0
    .symbol:         bluestein_single_fwd_len650_dim1_sp_op_CI_CI.kd
    .uniform_work_group_size: 1
    .uses_dynamic_stack: false
    .vgpr_count:     216
    .vgpr_spill_count: 0
    .wavefront_size: 64
amdhsa.target:   amdgcn-amd-amdhsa--gfx950
amdhsa.version:
  - 1
  - 2
...

	.end_amdgpu_metadata
